;; amdgpu-corpus repo=ROCm/rocFFT kind=compiled arch=gfx1201 opt=O3
	.text
	.amdgcn_target "amdgcn-amd-amdhsa--gfx1201"
	.amdhsa_code_object_version 6
	.protected	bluestein_single_fwd_len441_dim1_half_op_CI_CI ; -- Begin function bluestein_single_fwd_len441_dim1_half_op_CI_CI
	.globl	bluestein_single_fwd_len441_dim1_half_op_CI_CI
	.p2align	8
	.type	bluestein_single_fwd_len441_dim1_half_op_CI_CI,@function
bluestein_single_fwd_len441_dim1_half_op_CI_CI: ; @bluestein_single_fwd_len441_dim1_half_op_CI_CI
; %bb.0:
	s_load_b128 s[4:7], s[0:1], 0x28
	v_mul_u32_u24_e32 v1, 0x411, v0
	s_mov_b32 s2, exec_lo
	v_mov_b32_e32 v9, 0
	s_delay_alu instid0(VALU_DEP_2) | instskip(NEXT) | instid1(VALU_DEP_1)
	v_lshrrev_b32_e32 v1, 16, v1
	v_add_nc_u32_e32 v8, ttmp9, v1
	s_wait_kmcnt 0x0
	s_delay_alu instid0(VALU_DEP_1)
	v_cmpx_gt_u64_e64 s[4:5], v[8:9]
	s_cbranch_execz .LBB0_15
; %bb.1:
	s_clause 0x1
	s_load_b64 s[8:9], s[0:1], 0x0
	s_load_b64 s[4:5], s[0:1], 0x38
	v_mul_lo_u16 v1, v1, 63
	s_delay_alu instid0(VALU_DEP_1) | instskip(NEXT) | instid1(VALU_DEP_1)
	v_sub_nc_u16 v0, v0, v1
	v_and_b32_e32 v22, 0xffff, v0
	v_cmp_gt_u16_e32 vcc_lo, 49, v0
	s_delay_alu instid0(VALU_DEP_2)
	v_lshlrev_b32_e32 v21, 2, v22
	s_and_saveexec_b32 s3, vcc_lo
	s_cbranch_execz .LBB0_3
; %bb.2:
	s_load_b64 s[10:11], s[0:1], 0x18
	s_wait_kmcnt 0x0
	s_load_b128 s[12:15], s[10:11], 0x0
	s_wait_kmcnt 0x0
	v_mad_co_u64_u32 v[0:1], null, s14, v8, 0
	v_mad_co_u64_u32 v[2:3], null, s12, v22, 0
	s_delay_alu instid0(VALU_DEP_1) | instskip(NEXT) | instid1(VALU_DEP_1)
	v_mad_co_u64_u32 v[4:5], null, s15, v8, v[1:2]
	v_mad_co_u64_u32 v[5:6], null, s13, v22, v[3:4]
	v_mov_b32_e32 v1, v4
	s_delay_alu instid0(VALU_DEP_1) | instskip(NEXT) | instid1(VALU_DEP_3)
	v_lshlrev_b64_e32 v[0:1], 2, v[0:1]
	v_mov_b32_e32 v3, v5
	s_delay_alu instid0(VALU_DEP_2) | instskip(NEXT) | instid1(VALU_DEP_2)
	v_add_co_u32 v0, s2, s6, v0
	v_lshlrev_b64_e32 v[2:3], 2, v[2:3]
	s_delay_alu instid0(VALU_DEP_4) | instskip(SKIP_1) | instid1(VALU_DEP_2)
	v_add_co_ci_u32_e64 v1, s2, s7, v1, s2
	s_mul_u64 s[6:7], s[12:13], 0xc4
	v_add_co_u32 v0, s2, v0, v2
	s_wait_alu 0xf1ff
	s_delay_alu instid0(VALU_DEP_2)
	v_add_co_ci_u32_e64 v1, s2, v1, v3, s2
	global_load_b32 v6, v[0:1], off
	s_wait_alu 0xfffe
	v_add_co_u32 v0, s2, v0, s6
	s_wait_alu 0xf1ff
	v_add_co_ci_u32_e64 v1, s2, s7, v1, s2
	s_clause 0x7
	global_load_b32 v7, v21, s[8:9]
	global_load_b32 v9, v21, s[8:9] offset:196
	global_load_b32 v10, v21, s[8:9] offset:392
	global_load_b32 v11, v21, s[8:9] offset:588
	global_load_b32 v12, v21, s[8:9] offset:784
	global_load_b32 v13, v21, s[8:9] offset:980
	global_load_b32 v14, v21, s[8:9] offset:1176
	global_load_b32 v15, v21, s[8:9] offset:1372
	global_load_b32 v16, v[0:1], off
	v_add_co_u32 v0, s2, v0, s6
	s_wait_alu 0xf1ff
	v_add_co_ci_u32_e64 v1, s2, s7, v1, s2
	global_load_b32 v17, v21, s[8:9] offset:1568
	v_add_co_u32 v2, s2, v0, s6
	s_wait_alu 0xf1ff
	v_add_co_ci_u32_e64 v3, s2, s7, v1, s2
	s_clause 0x1
	global_load_b32 v18, v[0:1], off
	global_load_b32 v19, v[2:3], off
	v_add_co_u32 v0, s2, v2, s6
	s_wait_alu 0xf1ff
	v_add_co_ci_u32_e64 v1, s2, s7, v3, s2
	s_delay_alu instid0(VALU_DEP_2) | instskip(SKIP_1) | instid1(VALU_DEP_2)
	v_add_co_u32 v2, s2, v0, s6
	s_wait_alu 0xf1ff
	v_add_co_ci_u32_e64 v3, s2, s7, v1, s2
	global_load_b32 v20, v[0:1], off
	v_add_co_u32 v0, s2, v2, s6
	s_wait_alu 0xf1ff
	v_add_co_ci_u32_e64 v1, s2, s7, v3, s2
	global_load_b32 v23, v[2:3], off
	v_add_co_u32 v2, s2, v0, s6
	s_wait_alu 0xf1ff
	v_add_co_ci_u32_e64 v3, s2, s7, v1, s2
	s_delay_alu instid0(VALU_DEP_2) | instskip(SKIP_1) | instid1(VALU_DEP_2)
	v_add_co_u32 v4, s2, v2, s6
	s_wait_alu 0xf1ff
	v_add_co_ci_u32_e64 v5, s2, s7, v3, s2
	global_load_b32 v0, v[0:1], off
	global_load_b32 v1, v[2:3], off
	;; [unrolled: 1-line block ×3, first 2 shown]
	s_wait_loadcnt 0x10
	v_lshrrev_b32_e32 v3, 16, v7
	s_wait_loadcnt 0xf
	v_lshrrev_b32_e32 v4, 16, v9
	;; [unrolled: 2-line block ×3, first 2 shown]
	v_lshrrev_b32_e32 v26, 16, v6
	s_wait_loadcnt 0xd
	v_lshrrev_b32_e32 v24, 16, v11
	v_mul_f16_e32 v30, v3, v6
	s_wait_loadcnt 0xc
	v_lshrrev_b32_e32 v25, 16, v12
	s_wait_loadcnt 0xb
	v_lshrrev_b32_e32 v27, 16, v13
	v_mul_f16_e32 v3, v3, v26
	s_wait_loadcnt 0x8
	v_lshrrev_b32_e32 v31, 16, v16
	v_mul_f16_e32 v33, v4, v16
	v_fma_f16 v26, v7, v26, -v30
	v_lshrrev_b32_e32 v28, 16, v14
	v_fmac_f16_e32 v3, v7, v6
	v_mul_f16_e32 v4, v4, v31
	v_fma_f16 v7, v9, v31, -v33
	v_lshrrev_b32_e32 v29, 16, v15
	s_wait_loadcnt 0x7
	v_lshrrev_b32_e32 v32, 16, v17
	s_wait_loadcnt 0x6
	v_lshrrev_b32_e32 v6, 16, v18
	v_mul_f16_e32 v30, v5, v18
	v_fmac_f16_e32 v4, v9, v16
	s_wait_loadcnt 0x5
	v_lshrrev_b32_e32 v9, 16, v19
	v_mul_f16_e32 v16, v24, v19
	v_mul_f16_e32 v5, v5, v6
	v_fma_f16 v6, v10, v6, -v30
	v_pack_b32_f16 v4, v4, v7
	v_mul_f16_e32 v7, v24, v9
	v_fma_f16 v9, v11, v9, -v16
	v_fmac_f16_e32 v5, v10, v18
	v_pack_b32_f16 v3, v3, v26
	s_wait_loadcnt 0x4
	v_lshrrev_b32_e32 v10, 16, v20
	v_mul_f16_e32 v16, v25, v20
	v_pack_b32_f16 v5, v5, v6
	v_fmac_f16_e32 v7, v11, v19
	s_delay_alu instid0(VALU_DEP_4)
	v_mul_f16_e32 v6, v25, v10
	s_wait_loadcnt 0x3
	v_lshrrev_b32_e32 v11, 16, v23
	v_fma_f16 v10, v12, v10, -v16
	v_mul_f16_e32 v18, v27, v23
	v_pack_b32_f16 v7, v7, v9
	v_fmac_f16_e32 v6, v12, v20
	v_mul_f16_e32 v9, v27, v11
	s_delay_alu instid0(VALU_DEP_4)
	v_fma_f16 v11, v13, v11, -v18
	s_wait_loadcnt 0x2
	v_lshrrev_b32_e32 v12, 16, v0
	v_mul_f16_e32 v16, v28, v0
	v_pack_b32_f16 v6, v6, v10
	s_wait_loadcnt 0x1
	v_lshrrev_b32_e32 v10, 16, v1
	v_fmac_f16_e32 v9, v13, v23
	s_wait_loadcnt 0x0
	v_lshrrev_b32_e32 v13, 16, v2
	v_mul_f16_e32 v18, v28, v12
	v_fma_f16 v12, v14, v12, -v16
	v_mul_f16_e32 v16, v29, v1
	v_mul_f16_e32 v19, v29, v10
	;; [unrolled: 1-line block ×4, first 2 shown]
	v_fmac_f16_e32 v18, v14, v0
	v_fma_f16 v0, v15, v10, -v16
	v_fmac_f16_e32 v19, v15, v1
	v_fmac_f16_e32 v20, v17, v2
	v_fma_f16 v1, v17, v13, -v23
	v_pack_b32_f16 v2, v9, v11
	v_pack_b32_f16 v9, v18, v12
	;; [unrolled: 1-line block ×3, first 2 shown]
	v_add_nc_u32_e32 v10, 0x400, v21
	v_pack_b32_f16 v1, v20, v1
	ds_store_2addr_b32 v21, v3, v4 offset1:49
	ds_store_2addr_b32 v21, v5, v7 offset0:98 offset1:147
	ds_store_2addr_b32 v21, v6, v2 offset0:196 offset1:245
	;; [unrolled: 1-line block ×3, first 2 shown]
	ds_store_b32 v21, v1 offset:1568
.LBB0_3:
	s_or_b32 exec_lo, exec_lo, s3
	s_clause 0x1
	s_load_b64 s[2:3], s[0:1], 0x20
	s_load_b64 s[6:7], s[0:1], 0x8
	v_dual_mov_b32 v1, 0 :: v_dual_mov_b32 v4, 0
	v_dual_mov_b32 v5, 0 :: v_dual_mov_b32 v2, 0
	global_wb scope:SCOPE_SE
	s_wait_dscnt 0x0
	s_wait_kmcnt 0x0
	s_barrier_signal -1
	s_barrier_wait -1
	global_inv scope:SCOPE_SE
                                        ; implicit-def: $vgpr7
                                        ; implicit-def: $vgpr9
	s_and_saveexec_b32 s0, vcc_lo
	s_cbranch_execz .LBB0_5
; %bb.4:
	v_add_nc_u32_e32 v4, 0x400, v21
	ds_load_2addr_b32 v[0:1], v21 offset1:49
	ds_load_2addr_b32 v[2:3], v21 offset0:196 offset1:245
	ds_load_b32 v9, v21 offset:1568
	ds_load_2addr_b32 v[6:7], v4 offset0:38 offset1:87
	ds_load_2addr_b32 v[4:5], v21 offset0:98 offset1:147
.LBB0_5:
	s_wait_alu 0xfffe
	s_or_b32 exec_lo, exec_lo, s0
	s_wait_dscnt 0x0
	v_alignbit_b32 v10, v4, v1, 16
	v_alignbit_b32 v11, v7, v9, 16
	;; [unrolled: 1-line block ×4, first 2 shown]
	v_pk_add_f16 v9, v9, v1
	v_pk_add_f16 v7, v7, v4
	v_pk_add_f16 v10, v10, v11 neg_lo:[0,1] neg_hi:[0,1]
	v_pk_add_f16 v4, v2, v3 neg_lo:[0,1] neg_hi:[0,1]
	;; [unrolled: 1-line block ×3, first 2 shown]
	v_pk_add_f16 v11, v3, v2
	v_pk_add_f16 v14, v5, v6 neg_lo:[0,1] neg_hi:[0,1]
	v_pk_mul_f16 v12, 0x3be13924, v10
	v_pk_fma_f16 v15, 0x3a21, v9, v0 op_sel_hi:[0,1,1]
	v_pk_mul_f16 v16, 0x3924, v4 op_sel_hi:[0,1]
	v_bfi_b32 v17, 0xffff, v10, v1
	v_pk_fma_f16 v18, 0x3a21, v11, v0 op_sel_hi:[0,1,1]
	v_pk_mul_f16 v14, 0x3aee, v14 op_sel_hi:[0,1]
	v_pk_fma_f16 v12, 0x39243be1, v1, v12
	v_pk_add_f16 v13, v6, v5
	v_pk_fma_f16 v5, 0x318f, v7, v15 op_sel_hi:[0,1,1]
	v_pk_fma_f16 v6, 0x3be1, v17, v16 op_sel:[0,0,1] op_sel_hi:[0,1,0] neg_lo:[0,0,1] neg_hi:[0,0,1]
	v_pk_fma_f16 v15, 0x318f, v9, v18 op_sel_hi:[0,1,1]
	v_pk_add_f16 v12, v12, v14 op_sel:[0,1] op_sel_hi:[1,0]
	v_pk_mul_f16 v16, 0x3579, v4 op_sel_hi:[0,1]
	v_pk_fma_f16 v5, v13, 0.5, v5 op_sel_hi:[1,0,1] neg_lo:[1,0,0] neg_hi:[1,0,0]
	v_pk_add_f16 v6, v6, v14 op_sel:[0,1] op_sel_hi:[1,0] neg_lo:[0,1] neg_hi:[0,1]
	v_bfi_b32 v17, 0xffff, v1, v10
	v_pk_fma_f16 v15, v13, 0.5, v15 op_sel_hi:[1,0,1] neg_lo:[1,0,0] neg_hi:[1,0,0]
	v_pk_add_f16 v12, v12, v16 op_sel:[0,1] op_sel_hi:[1,0]
	v_pk_fma_f16 v5, 0x3b84, v11, v5 op_sel_hi:[0,1,1] neg_lo:[0,1,0] neg_hi:[0,1,0]
	v_mul_lo_u16 v23, v22, 9
	v_pk_fma_f16 v17, 0x3579, v17, v6 op_sel_hi:[0,1,1]
	v_pk_fma_f16 v6, 0x3b84, v7, v15 op_sel_hi:[0,1,1] neg_lo:[0,1,0] neg_hi:[0,1,0]
	v_lshrrev_b32_e32 v18, 16, v12
	v_pk_add_f16 v15, v5, v12 neg_lo:[0,1] neg_hi:[0,1]
	v_pk_add_f16 v16, v5, v12
	v_lshrrev_b32_e32 v19, 16, v17
	v_pk_add_f16 v5, v6, v17 neg_lo:[0,1] neg_hi:[0,1]
	v_pk_add_f16 v6, v6, v17
	v_lshrrev_b32_e32 v26, 16, v15
	v_fma_f16 v25, -2.0, v12, v16
	global_wb scope:SCOPE_SE
	v_lshrrev_b32_e32 v27, 16, v5
	v_fma_f16 v12, -2.0, v17, v6
	v_fmac_f16_e32 v26, 2.0, v18
	s_barrier_signal -1
	s_barrier_wait -1
	v_fmac_f16_e32 v27, 2.0, v19
	global_inv scope:SCOPE_SE
	s_and_saveexec_b32 s0, vcc_lo
	s_cbranch_execz .LBB0_7
; %bb.6:
	v_lshrrev_b32_e32 v17, 16, v4
	v_fmamk_f16 v20, v7, 0x3a21, v0
	v_lshrrev_b32_e32 v30, 16, v7
	v_lshrrev_b32_e32 v31, 16, v0
	v_pk_mul_f16 v18, v13, 0.5 op_sel_hi:[1,0]
	v_mul_f16_e32 v28, 0x3be1, v17
	v_lshrrev_b32_e32 v19, 16, v14
	v_lshrrev_b32_e32 v29, 16, v10
	v_fmac_f16_e32 v20, 0x318f, v11
	v_mul_f16_e32 v32, 0x3be1, v4
	v_fma_f16 v28, v1, 0xb924, -v28
	v_lshrrev_b32_e32 v33, 16, v11
	v_fmac_f16_e32 v31, 0x3a21, v30
	v_sub_f16_e32 v20, v20, v18
	v_pk_add_f16 v7, v9, v7
	v_add_f16_e32 v19, v19, v28
	v_fma_f16 v28, v29, 0xb924, -v32
	v_lshrrev_b32_e32 v18, 16, v18
	v_fmac_f16_e32 v31, 0x318f, v33
	v_lshrrev_b32_e32 v24, 16, v1
	v_fmac_f16_e32 v20, 0xbb84, v9
	v_add_f16_e32 v14, v14, v28
	v_lshrrev_b32_e32 v28, 16, v9
	v_add_f16_e32 v9, v10, v17
	v_pk_add_f16 v17, v0, v13
	v_pk_add_f16 v11, v7, v11
	v_sub_f16_e32 v18, v31, v18
	v_add_f16_e32 v4, v24, v4
	v_sub_f16_e32 v1, v9, v1
	v_pk_add_f16 v7, v7, v13
	v_lshrrev_b32_e32 v9, 16, v17
	v_lshrrev_b32_e32 v13, 16, v11
	v_fmac_f16_e32 v19, 0x3579, v10
	v_fmac_f16_e32 v14, 0x3579, v24
	v_fmac_f16_e32 v18, 0xbb84, v28
	v_sub_f16_e32 v4, v4, v29
	v_pk_add_f16 v2, v7, v2
	v_fmac_f16_e32 v17, -0.5, v11
	v_fmac_f16_e32 v9, -0.5, v13
	v_add_f16_e32 v20, v20, v19
	v_bfi_b32 v15, 0xffff, v16, v15
	v_sub_f16_e32 v16, v18, v14
	v_mul_f16_e32 v18, 0x3aee, v1
	v_mul_f16_e32 v7, 0x3aee, v4
	v_pk_add_f16 v2, v3, v2
	v_fmac_f16_e32 v17, 0x3aee, v1
	v_fmac_f16_e32 v9, 0xbaee, v4
	v_and_b32_e32 v11, 0xffff, v23
	v_fma_f16 v10, -2.0, v19, v20
	v_fma_f16 v1, 2.0, v14, v16
	v_pk_add_f16 v0, v0, v2
	v_fma_f16 v2, -2.0, v18, v17
	v_fma_f16 v4, 2.0, v7, v9
	v_lshlrev_b32_e32 v3, 2, v11
	v_pack_b32_f16 v7, v17, v9
	v_bfi_b32 v5, 0xffff, v6, v5
	v_pack_b32_f16 v6, v20, v16
	v_pack_b32_f16 v1, v10, v1
	;; [unrolled: 1-line block ×3, first 2 shown]
	v_perm_b32 v4, v27, v12, 0x5040100
	v_perm_b32 v9, v26, v25, 0x5040100
	ds_store_2addr_b32 v3, v0, v15 offset1:1
	ds_store_2addr_b32 v3, v5, v7 offset0:2 offset1:3
	ds_store_2addr_b32 v3, v6, v1 offset0:4 offset1:5
	;; [unrolled: 1-line block ×3, first 2 shown]
	ds_store_b32 v3, v9 offset:32
.LBB0_7:
	s_wait_alu 0xfffe
	s_or_b32 exec_lo, exec_lo, s0
	v_and_b32_e32 v0, 0xff, v22
	s_load_b128 s[0:3], s[2:3], 0x0
	global_wb scope:SCOPE_SE
	s_wait_dscnt 0x0
	s_wait_kmcnt 0x0
	s_barrier_signal -1
	s_barrier_wait -1
	v_mul_lo_u16 v0, v0, 57
	global_inv scope:SCOPE_SE
	v_add_nc_u32_e32 v47, 0x200, v21
	v_mad_co_u64_u32 v[15:16], null, v22, 24, s[6:7]
	v_lshrrev_b16 v11, 9, v0
	s_delay_alu instid0(VALU_DEP_1) | instskip(SKIP_1) | instid1(VALU_DEP_2)
	v_mul_lo_u16 v0, v11, 9
	v_and_b32_e32 v11, 0xffff, v11
	v_sub_nc_u16 v0, v22, v0
	s_delay_alu instid0(VALU_DEP_2) | instskip(NEXT) | instid1(VALU_DEP_2)
	v_mul_u32_u24_e32 v11, 63, v11
	v_and_b32_e32 v17, 0xff, v0
	s_delay_alu instid0(VALU_DEP_1) | instskip(NEXT) | instid1(VALU_DEP_3)
	v_mul_u32_u24_e32 v0, 6, v17
	v_add_lshl_u32 v24, v11, v17, 2
	s_delay_alu instid0(VALU_DEP_2)
	v_lshlrev_b32_e32 v4, 2, v0
	s_clause 0x1
	global_load_b128 v[0:3], v4, s[6:7]
	global_load_b64 v[9:10], v4, s[6:7] offset:16
	ds_load_2addr_b32 v[4:5], v21 offset1:63
	ds_load_2addr_b32 v[6:7], v21 offset0:126 offset1:189
	ds_load_b32 v18, v21 offset:1512
	ds_load_2addr_b32 v[13:14], v47 offset0:124 offset1:187
	global_wb scope:SCOPE_SE
	s_wait_loadcnt_dscnt 0x0
	s_barrier_signal -1
	s_barrier_wait -1
	global_inv scope:SCOPE_SE
	v_lshrrev_b32_e32 v28, 16, v6
	v_lshrrev_b32_e32 v20, 16, v5
	;; [unrolled: 1-line block ×13, first 2 shown]
	v_mul_f16_e32 v11, v20, v36
	v_mul_f16_e32 v17, v5, v36
	;; [unrolled: 1-line block ×12, first 2 shown]
	v_fma_f16 v5, v5, v0, -v11
	v_fmac_f16_e32 v17, v20, v0
	v_fma_f16 v6, v6, v1, -v39
	v_fmac_f16_e32 v40, v28, v1
	v_fma_f16 v11, v13, v3, -v43
	v_fma_f16 v13, v18, v10, -v48
	v_fmac_f16_e32 v49, v30, v10
	v_fma_f16 v14, v14, v9, -v45
	v_fmac_f16_e32 v46, v38, v9
	;; [unrolled: 2-line block ×3, first 2 shown]
	v_fmac_f16_e32 v44, v37, v3
	v_add_f16_e32 v18, v5, v13
	v_add_f16_e32 v20, v17, v49
	v_sub_f16_e32 v5, v5, v13
	v_sub_f16_e32 v13, v17, v49
	v_add_f16_e32 v17, v6, v14
	v_add_f16_e32 v28, v40, v46
	v_sub_f16_e32 v6, v6, v14
	v_sub_f16_e32 v14, v40, v46
	;; [unrolled: 4-line block ×4, first 2 shown]
	v_sub_f16_e32 v18, v18, v29
	v_sub_f16_e32 v20, v20, v30
	;; [unrolled: 1-line block ×4, first 2 shown]
	v_add_f16_e32 v41, v7, v6
	v_add_f16_e32 v42, v11, v14
	v_sub_f16_e32 v43, v7, v6
	v_sub_f16_e32 v44, v11, v14
	;; [unrolled: 1-line block ×4, first 2 shown]
	v_add_f16_e32 v29, v29, v37
	v_add_f16_e32 v30, v30, v38
	v_sub_f16_e32 v7, v5, v7
	v_sub_f16_e32 v11, v13, v11
	v_add_f16_e32 v5, v41, v5
	v_add_f16_e32 v13, v42, v13
	v_mul_f16_e32 v18, 0x3a52, v18
	v_mul_f16_e32 v20, 0x3a52, v20
	;; [unrolled: 1-line block ×8, first 2 shown]
	v_add_f16_e32 v4, v4, v29
	v_add_f16_e32 v19, v19, v30
	v_fmamk_f16 v17, v17, 0x2b26, v18
	v_fmamk_f16 v28, v28, 0x2b26, v20
	v_fma_f16 v37, v39, 0x39e0, -v37
	v_fma_f16 v38, v40, 0x39e0, -v38
	v_fma_f16 v18, v39, 0xb9e0, -v18
	v_fma_f16 v20, v40, 0xb9e0, -v20
	v_fmamk_f16 v39, v7, 0x3574, v41
	v_fmamk_f16 v40, v11, 0x3574, v42
	v_fma_f16 v6, v6, 0x3b00, -v41
	v_fma_f16 v14, v14, 0x3b00, -v42
	;; [unrolled: 1-line block ×4, first 2 shown]
	v_fmamk_f16 v29, v29, 0xbcab, v4
	v_fmamk_f16 v30, v30, 0xbcab, v19
	v_fmac_f16_e32 v39, 0x370e, v5
	v_fmac_f16_e32 v40, 0x370e, v13
	;; [unrolled: 1-line block ×6, first 2 shown]
	v_add_f16_e32 v5, v17, v29
	v_add_f16_e32 v13, v28, v30
	v_pack_b32_f16 v4, v4, v19
	v_add_f16_e32 v17, v37, v29
	v_add_f16_e32 v18, v18, v29
	;; [unrolled: 1-line block ×5, first 2 shown]
	v_sub_f16_e32 v29, v13, v39
	v_add_f16_e32 v30, v11, v18
	v_sub_f16_e32 v37, v19, v7
	v_sub_f16_e32 v38, v17, v14
	v_add_f16_e32 v41, v6, v20
	v_add_f16_e32 v14, v14, v17
	v_sub_f16_e32 v6, v20, v6
	v_sub_f16_e32 v11, v18, v11
	v_add_f16_e32 v7, v7, v19
	v_sub_f16_e32 v5, v5, v40
	v_add_f16_e32 v13, v39, v13
	v_pack_b32_f16 v17, v28, v29
	v_pack_b32_f16 v18, v30, v37
	v_pack_b32_f16 v19, v38, v41
	v_pack_b32_f16 v6, v14, v6
	v_pack_b32_f16 v7, v11, v7
	v_pack_b32_f16 v5, v5, v13
	ds_store_2addr_b32 v24, v4, v17 offset1:9
	ds_store_2addr_b32 v24, v18, v19 offset0:18 offset1:27
	ds_store_2addr_b32 v24, v6, v7 offset0:36 offset1:45
	ds_store_b32 v24, v5 offset:216
	global_wb scope:SCOPE_SE
	s_wait_dscnt 0x0
	s_barrier_signal -1
	s_barrier_wait -1
	global_inv scope:SCOPE_SE
	s_clause 0x1
	global_load_b128 v[4:7], v[15:16], off offset:216
	global_load_b64 v[13:14], v[15:16], off offset:232
	ds_load_2addr_b32 v[15:16], v21 offset1:63
	ds_load_2addr_b32 v[17:18], v21 offset0:126 offset1:189
	ds_load_2addr_b32 v[19:20], v47 offset0:124 offset1:187
	ds_load_b32 v11, v21 offset:1512
	s_wait_dscnt 0x3
	v_lshrrev_b32_e32 v41, 16, v16
	s_wait_dscnt 0x2
	v_lshrrev_b32_e32 v42, 16, v17
	s_wait_dscnt 0x1
	v_lshrrev_b32_e32 v45, 16, v20
	s_wait_dscnt 0x0
	v_lshrrev_b32_e32 v46, 16, v11
	v_lshrrev_b32_e32 v43, 16, v18
	v_lshrrev_b32_e32 v44, 16, v19
	;; [unrolled: 1-line block ×3, first 2 shown]
	s_wait_loadcnt 0x1
	v_lshrrev_b32_e32 v39, 16, v4
	v_lshrrev_b32_e32 v38, 16, v5
	s_wait_loadcnt 0x0
	v_lshrrev_b32_e32 v28, 16, v13
	v_lshrrev_b32_e32 v30, 16, v14
	;; [unrolled: 1-line block ×4, first 2 shown]
	v_mul_f16_e32 v48, v41, v39
	v_mul_f16_e32 v49, v16, v39
	;; [unrolled: 1-line block ×12, first 2 shown]
	v_fma_f16 v16, v16, v4, -v48
	v_fmac_f16_e32 v49, v41, v4
	v_fma_f16 v17, v17, v5, -v50
	v_fmac_f16_e32 v51, v42, v5
	;; [unrolled: 2-line block ×6, first 2 shown]
	v_add_f16_e32 v41, v16, v11
	v_add_f16_e32 v42, v49, v59
	;; [unrolled: 1-line block ×4, first 2 shown]
	v_sub_f16_e32 v11, v16, v11
	v_sub_f16_e32 v16, v49, v59
	;; [unrolled: 1-line block ×4, first 2 shown]
	v_add_f16_e32 v45, v18, v19
	v_add_f16_e32 v46, v53, v55
	v_sub_f16_e32 v18, v19, v18
	v_sub_f16_e32 v19, v55, v53
	v_add_f16_e32 v48, v43, v41
	v_add_f16_e32 v49, v44, v42
	v_sub_f16_e32 v50, v43, v41
	v_sub_f16_e32 v51, v44, v42
	;; [unrolled: 1-line block ×6, first 2 shown]
	v_add_f16_e32 v52, v18, v17
	v_add_f16_e32 v53, v19, v20
	v_sub_f16_e32 v54, v18, v17
	v_sub_f16_e32 v55, v19, v20
	;; [unrolled: 1-line block ×4, first 2 shown]
	v_add_f16_e32 v45, v45, v48
	v_add_f16_e32 v46, v46, v49
	v_sub_f16_e32 v18, v11, v18
	v_sub_f16_e32 v19, v16, v19
	v_add_f16_e32 v11, v52, v11
	v_add_f16_e32 v16, v53, v16
	v_mul_f16_e32 v41, 0x3a52, v41
	v_mul_f16_e32 v42, 0x3a52, v42
	;; [unrolled: 1-line block ×8, first 2 shown]
	v_add_f16_e32 v15, v15, v45
	v_add_f16_e32 v40, v40, v46
	v_fmamk_f16 v43, v43, 0x2b26, v41
	v_fmamk_f16 v44, v44, 0x2b26, v42
	v_fma_f16 v48, v50, 0x39e0, -v48
	v_fma_f16 v49, v51, 0x39e0, -v49
	;; [unrolled: 1-line block ×4, first 2 shown]
	v_fmamk_f16 v50, v18, 0x3574, v52
	v_fmamk_f16 v51, v19, 0x3574, v53
	v_fma_f16 v52, v17, 0x3b00, -v52
	v_fma_f16 v17, v20, 0x3b00, -v53
	;; [unrolled: 1-line block ×4, first 2 shown]
	v_fmamk_f16 v19, v45, 0xbcab, v15
	v_fmamk_f16 v20, v46, 0xbcab, v40
	v_fmac_f16_e32 v50, 0x370e, v11
	v_fmac_f16_e32 v51, 0x370e, v16
	;; [unrolled: 1-line block ×4, first 2 shown]
	v_add_f16_e32 v11, v43, v19
	v_add_f16_e32 v45, v44, v20
	v_fmac_f16_e32 v17, 0x370e, v16
	v_fmac_f16_e32 v18, 0x370e, v16
	v_add_f16_e32 v48, v48, v19
	v_add_f16_e32 v41, v41, v19
	;; [unrolled: 1-line block ×5, first 2 shown]
	v_sub_f16_e32 v43, v45, v50
	v_add_f16_e32 v19, v18, v41
	v_sub_f16_e32 v46, v55, v53
	v_sub_f16_e32 v20, v48, v17
	v_add_f16_e32 v44, v52, v42
	v_add_f16_e32 v17, v17, v48
	v_sub_f16_e32 v42, v42, v52
	v_sub_f16_e32 v18, v41, v18
	v_add_f16_e32 v41, v53, v55
	v_sub_f16_e32 v11, v11, v51
	v_add_f16_e32 v45, v50, v45
	v_pack_b32_f16 v54, v15, v40
	v_pack_b32_f16 v48, v16, v43
	;; [unrolled: 1-line block ×7, first 2 shown]
	ds_store_2addr_b32 v21, v54, v48 offset1:63
	ds_store_2addr_b32 v21, v49, v50 offset0:126 offset1:189
	ds_store_2addr_b32 v47, v51, v52 offset0:124 offset1:187
	ds_store_b32 v21, v53 offset:1512
	global_wb scope:SCOPE_SE
	s_wait_dscnt 0x0
	s_barrier_signal -1
	s_barrier_wait -1
	global_inv scope:SCOPE_SE
	s_and_saveexec_b32 s6, vcc_lo
	s_cbranch_execz .LBB0_9
; %bb.8:
	s_add_nc_u64 s[10:11], s[8:9], 0x6e4
	s_clause 0x8
	global_load_b32 v49, v21, s[8:9] offset:1764
	global_load_b32 v50, v21, s[10:11] offset:196
	;; [unrolled: 1-line block ×9, first 2 shown]
	ds_load_2addr_b32 v[47:48], v21 offset1:49
	s_wait_dscnt 0x0
	v_lshrrev_b32_e32 v51, 16, v47
	v_lshrrev_b32_e32 v60, 16, v48
	s_wait_loadcnt 0x8
	v_lshrrev_b32_e32 v52, 16, v49
	s_wait_loadcnt 0x7
	;; [unrolled: 2-line block ×3, first 2 shown]
	v_lshrrev_b32_e32 v64, 16, v55
	v_mul_f16_e32 v62, v51, v52
	v_mul_f16_e32 v52, v47, v52
	;; [unrolled: 1-line block ×4, first 2 shown]
	s_wait_loadcnt 0x3
	v_lshrrev_b32_e32 v65, 16, v56
	v_fma_f16 v47, v47, v49, -v62
	v_fmac_f16_e32 v52, v51, v49
	v_fma_f16 v48, v48, v50, -v63
	v_fmac_f16_e32 v61, v60, v50
	v_add_nc_u32_e32 v60, 0x400, v21
	v_lshrrev_b32_e32 v62, 16, v53
	v_pack_b32_f16 v47, v47, v52
	v_lshrrev_b32_e32 v63, 16, v54
	v_pack_b32_f16 v48, v48, v61
	s_wait_loadcnt 0x2
	v_lshrrev_b32_e32 v66, 16, v57
	s_wait_loadcnt 0x1
	v_lshrrev_b32_e32 v67, 16, v58
	;; [unrolled: 2-line block ×3, first 2 shown]
	ds_store_2addr_b32 v21, v47, v48 offset1:49
	ds_load_2addr_b32 v[47:48], v21 offset0:98 offset1:147
	ds_load_2addr_b32 v[49:50], v21 offset0:196 offset1:245
	;; [unrolled: 1-line block ×3, first 2 shown]
	ds_load_b32 v61, v21 offset:1568
	s_wait_dscnt 0x2
	v_lshrrev_b32_e32 v73, 16, v49
	v_lshrrev_b32_e32 v69, 16, v47
	;; [unrolled: 1-line block ×4, first 2 shown]
	s_wait_dscnt 0x1
	v_lshrrev_b32_e32 v77, 16, v51
	v_lshrrev_b32_e32 v79, 16, v52
	s_wait_dscnt 0x0
	v_lshrrev_b32_e32 v81, 16, v61
	v_mul_f16_e32 v70, v47, v65
	v_mul_f16_e32 v72, v48, v62
	;; [unrolled: 1-line block ×14, first 2 shown]
	v_fmac_f16_e32 v70, v69, v56
	v_fmac_f16_e32 v72, v71, v53
	v_fma_f16 v47, v47, v56, -v65
	v_fma_f16 v48, v48, v53, -v62
	v_fmac_f16_e32 v74, v73, v54
	v_fmac_f16_e32 v76, v75, v55
	v_fma_f16 v49, v49, v54, -v63
	v_fma_f16 v50, v50, v55, -v64
	v_fmac_f16_e32 v78, v77, v57
	v_fmac_f16_e32 v80, v79, v58
	v_fma_f16 v51, v51, v57, -v66
	v_fma_f16 v52, v52, v58, -v67
	v_fmac_f16_e32 v82, v81, v59
	v_fma_f16 v53, v61, v59, -v68
	v_pack_b32_f16 v47, v47, v70
	v_pack_b32_f16 v48, v48, v72
	;; [unrolled: 1-line block ×7, first 2 shown]
	ds_store_2addr_b32 v21, v47, v48 offset0:98 offset1:147
	ds_store_2addr_b32 v21, v49, v50 offset0:196 offset1:245
	ds_store_2addr_b32 v60, v51, v52 offset0:38 offset1:87
	ds_store_b32 v21, v53 offset:1568
.LBB0_9:
	s_wait_alu 0xfffe
	s_or_b32 exec_lo, exec_lo, s6
	global_wb scope:SCOPE_SE
	s_wait_dscnt 0x0
	s_barrier_signal -1
	s_barrier_wait -1
	global_inv scope:SCOPE_SE
	s_and_saveexec_b32 s6, vcc_lo
	s_cbranch_execz .LBB0_11
; %bb.10:
	v_add_nc_u32_e32 v11, 0x400, v21
	ds_load_2addr_b32 v[15:16], v21 offset1:49
	ds_load_2addr_b32 v[19:20], v21 offset0:98 offset1:147
	ds_load_2addr_b32 v[17:18], v21 offset0:196 offset1:245
	;; [unrolled: 1-line block ×3, first 2 shown]
	ds_load_b32 v25, v21 offset:1568
	s_wait_dscnt 0x3
	v_lshrrev_b32_e32 v46, 16, v19
	v_lshrrev_b32_e32 v40, 16, v15
	;; [unrolled: 1-line block ×4, first 2 shown]
	s_wait_dscnt 0x2
	v_lshrrev_b32_e32 v42, 16, v17
	v_lshrrev_b32_e32 v41, 16, v18
	s_wait_dscnt 0x1
	v_lshrrev_b32_e32 v45, 16, v11
	v_lshrrev_b32_e32 v27, 16, v12
	s_wait_dscnt 0x0
	v_lshrrev_b32_e32 v26, 16, v25
.LBB0_11:
	s_wait_alu 0xfffe
	s_or_b32 exec_lo, exec_lo, s6
	global_wb scope:SCOPE_SE
	s_barrier_signal -1
	s_barrier_wait -1
	global_inv scope:SCOPE_SE
	s_and_saveexec_b32 s6, vcc_lo
	s_cbranch_execz .LBB0_13
; %bb.12:
	v_sub_f16_e32 v47, v42, v41
	v_add_f16_e32 v50, v12, v19
	v_sub_f16_e32 v51, v46, v27
	v_add_f16_e32 v53, v18, v17
	v_sub_f16_e32 v49, v44, v45
	v_mul_f16_e32 v52, 0x3be1, v47
	v_fmamk_f16 v55, v50, 0x3a21, v15
	v_add_f16_e32 v54, v11, v20
	v_sub_f16_e32 v48, v43, v26
	v_add_f16_e32 v57, v25, v16
	v_fma_f16 v52, v51, 0xb924, -v52
	v_fmac_f16_e32 v55, 0x318f, v53
	v_add_f16_e32 v27, v27, v46
	v_add_f16_e32 v26, v26, v43
	v_sub_f16_e32 v16, v16, v25
	v_fmac_f16_e32 v52, 0x3aee, v49
	v_fmac_f16_e32 v55, -0.5, v54
	v_add_f16_e32 v25, v45, v44
	v_add_f16_e32 v43, v27, v26
	;; [unrolled: 1-line block ×3, first 2 shown]
	v_fmac_f16_e32 v52, 0x3579, v48
	v_fmac_f16_e32 v55, 0xbb84, v57
	v_sub_f16_e32 v56, v17, v18
	v_add_f16_e32 v46, v41, v42
	v_add_f16_e32 v58, v54, v44
	;; [unrolled: 1-line block ×3, first 2 shown]
	v_sub_f16_e32 v45, v55, v52
	v_add_f16_e32 v55, v25, v43
	v_add_f16_e32 v60, v47, v48
	;; [unrolled: 1-line block ×3, first 2 shown]
	v_sub_f16_e32 v12, v19, v12
	v_mul_f16_e32 v19, 0x3be1, v56
	v_add_f16_e32 v42, v42, v55
	v_sub_f16_e32 v55, v60, v51
	v_fmac_f16_e32 v59, -0.5, v44
	v_add_f16_e32 v44, v56, v16
	v_add_f16_e32 v60, v25, v40
	;; [unrolled: 1-line block ×3, first 2 shown]
	v_sub_f16_e32 v11, v20, v11
	v_fma_f16 v19, v12, 0xb924, -v19
	v_add_f16_e32 v17, v17, v58
	v_sub_f16_e32 v44, v44, v12
	v_fmac_f16_e32 v60, -0.5, v43
	v_add_f16_e32 v41, v41, v42
	v_fmac_f16_e32 v19, 0x3aee, v11
	v_add_f16_e32 v17, v18, v17
	v_fma_f16 v42, 2.0, v52, v45
	v_mul_f16_e32 v52, 0xb924, v47
	v_mul_f16_e32 v58, 0xb924, v56
	v_fmamk_f16 v20, v27, 0x3a21, v40
	v_mul_f16_e32 v18, 0x3aee, v55
	v_fmac_f16_e32 v59, 0xbaee, v55
	v_fmamk_f16 v55, v53, 0x3a21, v15
	v_mul_f16_e32 v43, 0x3aee, v44
	v_fmac_f16_e32 v60, 0x3aee, v44
	v_fmamk_f16 v44, v46, 0x3a21, v40
	v_fmac_f16_e32 v19, 0x3579, v16
	v_add_f16_e32 v41, v40, v41
	v_add_f16_e32 v17, v15, v17
	v_fmac_f16_e32 v52, 0x3be1, v48
	v_fmac_f16_e32 v58, 0x3be1, v16
	;; [unrolled: 1-line block ×3, first 2 shown]
	v_mul_f16_e32 v48, 0x3924, v48
	v_mul_f16_e32 v16, 0x3924, v16
	v_fmac_f16_e32 v40, 0x3a21, v26
	v_fmac_f16_e32 v20, 0x318f, v46
	;; [unrolled: 1-line block ×8, first 2 shown]
	v_fmac_f16_e32 v20, -0.5, v25
	v_fmac_f16_e32 v52, 0xbaee, v49
	v_fmac_f16_e32 v55, -0.5, v54
	v_fmac_f16_e32 v58, 0xbaee, v11
	v_fmac_f16_e32 v44, -0.5, v25
	v_fmac_f16_e32 v15, -0.5, v54
	v_fmac_f16_e32 v48, 0x3aee, v49
	v_fmac_f16_e32 v16, 0x3aee, v11
	v_fmac_f16_e32 v40, -0.5, v25
	v_fmac_f16_e32 v20, 0xbb84, v26
	v_fmac_f16_e32 v52, 0x3579, v51
	;; [unrolled: 1-line block ×9, first 2 shown]
	v_add_f16_e32 v20, v19, v20
	v_sub_f16_e32 v12, v55, v52
	v_add_f16_e32 v25, v58, v44
	v_sub_f16_e32 v15, v15, v48
	v_add_f16_e32 v26, v16, v40
	v_and_b32_e32 v23, 0xffff, v23
	v_fma_f16 v19, -2.0, v19, v20
	v_fma_f16 v18, 2.0, v18, v59
	v_fma_f16 v11, -2.0, v43, v60
	v_fma_f16 v27, 2.0, v52, v12
	;; [unrolled: 2-line block ×3, first 2 shown]
	v_fma_f16 v16, -2.0, v16, v26
	v_lshlrev_b32_e32 v23, 2, v23
	v_pack_b32_f16 v15, v15, v26
	v_pack_b32_f16 v17, v17, v41
	;; [unrolled: 1-line block ×9, first 2 shown]
	ds_store_2addr_b32 v23, v17, v15 offset1:1
	ds_store_2addr_b32 v23, v12, v26 offset0:2 offset1:3
	ds_store_2addr_b32 v23, v20, v19 offset0:4 offset1:5
	ds_store_2addr_b32 v23, v11, v18 offset0:6 offset1:7
	ds_store_b32 v23, v16 offset:32
.LBB0_13:
	s_wait_alu 0xfffe
	s_or_b32 exec_lo, exec_lo, s6
	global_wb scope:SCOPE_SE
	s_wait_dscnt 0x0
	s_barrier_signal -1
	s_barrier_wait -1
	global_inv scope:SCOPE_SE
	ds_load_2addr_b32 v[15:16], v21 offset1:63
	ds_load_2addr_b32 v[17:18], v21 offset0:126 offset1:189
	v_add_nc_u32_e32 v11, 0x200, v21
	ds_load_b32 v12, v21 offset:1512
	ds_load_2addr_b32 v[19:20], v11 offset0:124 offset1:187
	global_wb scope:SCOPE_SE
	s_wait_dscnt 0x0
	s_barrier_signal -1
	s_barrier_wait -1
	global_inv scope:SCOPE_SE
	v_lshrrev_b32_e32 v25, 16, v16
	v_lshrrev_b32_e32 v26, 16, v17
	;; [unrolled: 1-line block ×3, first 2 shown]
	v_mul_f16_e32 v42, v35, v17
	v_mul_f16_e32 v41, v36, v16
	v_lshrrev_b32_e32 v40, 16, v12
	v_lshrrev_b32_e32 v46, 16, v20
	v_mul_f16_e32 v35, v35, v26
	v_mul_f16_e32 v43, v34, v18
	;; [unrolled: 1-line block ×3, first 2 shown]
	v_lshrrev_b32_e32 v45, 16, v19
	v_mul_f16_e32 v36, v36, v25
	v_fma_f16 v26, v1, v26, -v42
	v_mul_f16_e32 v34, v34, v27
	v_mul_f16_e32 v42, v31, v20
	;; [unrolled: 1-line block ×3, first 2 shown]
	v_fmac_f16_e32 v35, v1, v17
	v_mul_f16_e32 v1, v31, v46
	v_fma_f16 v25, v0, v25, -v41
	v_fma_f16 v27, v2, v27, -v43
	v_mul_f16_e32 v41, v32, v19
	v_fmac_f16_e32 v36, v0, v16
	v_mul_f16_e32 v0, v32, v45
	v_fmac_f16_e32 v34, v2, v18
	v_fmac_f16_e32 v33, v10, v12
	v_fma_f16 v2, v10, v40, -v44
	v_fmac_f16_e32 v1, v9, v20
	v_fma_f16 v9, v9, v46, -v42
	;; [unrolled: 2-line block ×3, first 2 shown]
	v_add_f16_e32 v10, v36, v33
	v_add_f16_e32 v12, v25, v2
	;; [unrolled: 1-line block ×4, first 2 shown]
	v_sub_f16_e32 v2, v25, v2
	v_sub_f16_e32 v1, v35, v1
	;; [unrolled: 1-line block ×3, first 2 shown]
	v_add_f16_e32 v19, v34, v0
	v_add_f16_e32 v20, v27, v3
	v_sub_f16_e32 v0, v0, v34
	v_sub_f16_e32 v3, v3, v27
	v_add_f16_e32 v25, v17, v10
	v_add_f16_e32 v26, v18, v12
	v_sub_f16_e32 v16, v36, v33
	v_lshrrev_b32_e32 v23, 16, v15
	v_sub_f16_e32 v27, v17, v10
	v_sub_f16_e32 v31, v18, v12
	v_sub_f16_e32 v10, v10, v19
	v_sub_f16_e32 v12, v12, v20
	v_sub_f16_e32 v17, v19, v17
	v_sub_f16_e32 v18, v20, v18
	v_add_f16_e32 v32, v0, v1
	v_add_f16_e32 v33, v3, v9
	v_sub_f16_e32 v34, v0, v1
	v_sub_f16_e32 v35, v3, v9
	v_add_f16_e32 v19, v19, v25
	v_add_f16_e32 v20, v20, v26
	v_sub_f16_e32 v1, v1, v16
	v_sub_f16_e32 v9, v9, v2
	;; [unrolled: 1-line block ×4, first 2 shown]
	v_add_f16_e32 v16, v32, v16
	v_add_f16_e32 v2, v33, v2
	;; [unrolled: 1-line block ×4, first 2 shown]
	v_mul_f16_e32 v10, 0x3a52, v10
	v_mul_f16_e32 v12, 0x3a52, v12
	;; [unrolled: 1-line block ×8, first 2 shown]
	v_fmamk_f16 v19, v19, 0xbcab, v15
	v_fmamk_f16 v20, v20, 0xbcab, v23
	v_fmamk_f16 v17, v17, 0x2b26, v10
	v_fmamk_f16 v18, v18, 0x2b26, v12
	v_fma_f16 v25, v27, 0x39e0, -v25
	v_fma_f16 v26, v31, 0x39e0, -v26
	;; [unrolled: 1-line block ×4, first 2 shown]
	v_fmamk_f16 v27, v0, 0xb574, v32
	v_fmamk_f16 v31, v3, 0xb574, v33
	v_fma_f16 v1, v1, 0xbb00, -v32
	v_fma_f16 v9, v9, 0xbb00, -v33
	v_fma_f16 v0, v0, 0x3574, -v34
	v_fma_f16 v3, v3, 0x3574, -v35
	v_add_f16_e32 v17, v17, v19
	v_add_f16_e32 v18, v18, v20
	v_fmac_f16_e32 v27, 0xb70e, v16
	v_fmac_f16_e32 v31, 0xb70e, v2
	v_add_f16_e32 v25, v25, v19
	v_add_f16_e32 v26, v26, v20
	;; [unrolled: 1-line block ×4, first 2 shown]
	v_fmac_f16_e32 v1, 0xb70e, v16
	v_fmac_f16_e32 v3, 0xb70e, v2
	;; [unrolled: 1-line block ×4, first 2 shown]
	v_add_f16_e32 v2, v31, v17
	v_sub_f16_e32 v16, v18, v27
	v_add_f16_e32 v19, v3, v10
	v_sub_f16_e32 v20, v12, v0
	v_sub_f16_e32 v32, v25, v9
	v_add_f16_e32 v33, v1, v26
	v_add_f16_e32 v9, v9, v25
	v_sub_f16_e32 v1, v26, v1
	v_sub_f16_e32 v3, v10, v3
	v_add_f16_e32 v0, v0, v12
	v_sub_f16_e32 v10, v17, v31
	v_add_f16_e32 v12, v27, v18
	v_pack_b32_f16 v15, v15, v23
	v_pack_b32_f16 v2, v2, v16
	;; [unrolled: 1-line block ×7, first 2 shown]
	ds_store_2addr_b32 v24, v15, v2 offset1:9
	ds_store_2addr_b32 v24, v16, v17 offset0:18 offset1:27
	ds_store_2addr_b32 v24, v1, v0 offset0:36 offset1:45
	ds_store_b32 v24, v3 offset:216
	global_wb scope:SCOPE_SE
	s_wait_dscnt 0x0
	s_barrier_signal -1
	s_barrier_wait -1
	global_inv scope:SCOPE_SE
	ds_load_2addr_b32 v[0:1], v21 offset1:63
	ds_load_2addr_b32 v[2:3], v21 offset0:126 offset1:189
	ds_load_2addr_b32 v[9:10], v11 offset0:124 offset1:187
	ds_load_b32 v12, v21 offset:1512
	s_wait_dscnt 0x3
	v_lshrrev_b32_e32 v15, 16, v1
	s_wait_dscnt 0x2
	v_lshrrev_b32_e32 v17, 16, v2
	v_lshrrev_b32_e32 v18, 16, v3
	v_mul_f16_e32 v20, v39, v1
	s_wait_dscnt 0x1
	v_lshrrev_b32_e32 v23, 16, v9
	v_mul_f16_e32 v19, v39, v15
	v_lshrrev_b32_e32 v24, 16, v10
	s_wait_dscnt 0x0
	v_lshrrev_b32_e32 v25, 16, v12
	v_mul_f16_e32 v26, v37, v3
	v_mul_f16_e32 v27, v29, v23
	v_fmac_f16_e32 v19, v4, v1
	v_fma_f16 v1, v4, v15, -v20
	v_mul_f16_e32 v4, v38, v17
	v_mul_f16_e32 v15, v38, v2
	v_mul_f16_e32 v20, v37, v18
	v_fmac_f16_e32 v27, v7, v9
	v_mul_f16_e32 v9, v29, v9
	v_fmac_f16_e32 v4, v5, v2
	v_fma_f16 v2, v5, v17, -v15
	v_fmac_f16_e32 v20, v6, v3
	v_fma_f16 v3, v6, v18, -v26
	v_mul_f16_e32 v5, v30, v25
	v_mul_f16_e32 v6, v30, v12
	;; [unrolled: 1-line block ×4, first 2 shown]
	v_fma_f16 v7, v7, v23, -v9
	v_fmac_f16_e32 v5, v14, v12
	v_fma_f16 v6, v14, v25, -v6
	v_fmac_f16_e32 v15, v13, v10
	v_fma_f16 v9, v13, v24, -v17
	v_add_f16_e32 v14, v3, v7
	v_add_f16_e32 v10, v19, v5
	;; [unrolled: 1-line block ×3, first 2 shown]
	v_sub_f16_e32 v1, v1, v6
	v_add_f16_e32 v6, v4, v15
	v_add_f16_e32 v13, v2, v9
	v_sub_f16_e32 v4, v4, v15
	v_sub_f16_e32 v2, v2, v9
	v_add_f16_e32 v9, v20, v27
	v_sub_f16_e32 v15, v27, v20
	v_sub_f16_e32 v3, v7, v3
	v_add_f16_e32 v7, v6, v10
	v_add_f16_e32 v17, v13, v12
	v_sub_f16_e32 v5, v19, v5
	v_lshrrev_b32_e32 v16, 16, v0
	v_sub_f16_e32 v18, v6, v10
	v_sub_f16_e32 v19, v13, v12
	;; [unrolled: 1-line block ×6, first 2 shown]
	v_add_f16_e32 v20, v15, v4
	v_add_f16_e32 v23, v3, v2
	v_sub_f16_e32 v24, v15, v4
	v_sub_f16_e32 v25, v3, v2
	v_add_f16_e32 v7, v9, v7
	v_add_f16_e32 v9, v14, v17
	v_sub_f16_e32 v4, v4, v5
	v_sub_f16_e32 v2, v2, v1
	;; [unrolled: 1-line block ×4, first 2 shown]
	v_add_f16_e32 v5, v20, v5
	v_add_f16_e32 v1, v23, v1
	v_add_f16_e32 v0, v0, v7
	v_add_f16_e32 v14, v16, v9
	v_mul_f16_e32 v10, 0x3a52, v10
	v_mul_f16_e32 v12, 0x3a52, v12
	;; [unrolled: 1-line block ×8, first 2 shown]
	v_fmamk_f16 v7, v7, 0xbcab, v0
	v_fmamk_f16 v9, v9, 0xbcab, v14
	;; [unrolled: 1-line block ×4, first 2 shown]
	v_fma_f16 v16, v18, 0x39e0, -v16
	v_fma_f16 v17, v19, 0x39e0, -v17
	;; [unrolled: 1-line block ×4, first 2 shown]
	v_fmamk_f16 v18, v15, 0xb574, v20
	v_fmamk_f16 v19, v3, 0xb574, v23
	v_fma_f16 v4, v4, 0xbb00, -v20
	v_fma_f16 v2, v2, 0xbb00, -v23
	;; [unrolled: 1-line block ×4, first 2 shown]
	v_add_f16_e32 v6, v6, v7
	v_add_f16_e32 v13, v13, v9
	v_fmac_f16_e32 v18, 0xb70e, v5
	v_fmac_f16_e32 v19, 0xb70e, v1
	v_add_f16_e32 v16, v16, v7
	v_add_f16_e32 v17, v17, v9
	;; [unrolled: 1-line block ×4, first 2 shown]
	v_fmac_f16_e32 v4, 0xb70e, v5
	v_fmac_f16_e32 v3, 0xb70e, v1
	;; [unrolled: 1-line block ×4, first 2 shown]
	v_add_f16_e32 v1, v19, v6
	v_sub_f16_e32 v5, v13, v18
	v_add_f16_e32 v10, v3, v7
	v_sub_f16_e32 v12, v9, v15
	v_sub_f16_e32 v20, v16, v2
	v_add_f16_e32 v23, v4, v17
	v_add_f16_e32 v2, v2, v16
	v_sub_f16_e32 v4, v17, v4
	v_sub_f16_e32 v3, v7, v3
	v_add_f16_e32 v7, v15, v9
	v_sub_f16_e32 v6, v6, v19
	v_add_f16_e32 v9, v18, v13
	v_pack_b32_f16 v0, v0, v14
	v_pack_b32_f16 v1, v1, v5
	;; [unrolled: 1-line block ×7, first 2 shown]
	ds_store_2addr_b32 v21, v0, v1 offset1:63
	ds_store_2addr_b32 v21, v5, v10 offset0:126 offset1:189
	ds_store_2addr_b32 v11, v2, v3 offset0:124 offset1:187
	ds_store_b32 v21, v4 offset:1512
	global_wb scope:SCOPE_SE
	s_wait_dscnt 0x0
	s_barrier_signal -1
	s_barrier_wait -1
	global_inv scope:SCOPE_SE
	s_and_b32 exec_lo, exec_lo, vcc_lo
	s_cbranch_execz .LBB0_15
; %bb.14:
	s_clause 0x6
	global_load_b32 v0, v21, s[8:9]
	global_load_b32 v1, v21, s[8:9] offset:196
	global_load_b32 v19, v21, s[8:9] offset:392
	;; [unrolled: 1-line block ×6, first 2 shown]
	v_mad_co_u64_u32 v[6:7], null, s2, v8, 0
	v_mad_co_u64_u32 v[13:14], null, s0, v22, 0
	ds_load_b32 v17, v21
	ds_load_2addr_b32 v[4:5], v21 offset0:49 offset1:98
	v_add_nc_u32_e32 v3, 0x400, v21
	ds_load_2addr_b32 v[9:10], v21 offset0:147 offset1:196
	ds_load_2addr_b32 v[11:12], v11 offset0:117 offset1:166
	s_mov_b32 s22, 0x5bb804a5
	v_mov_b32_e32 v2, v7
	s_mov_b32 s23, 0x3f629372
	v_mov_b32_e32 v7, v14
	s_mul_u64 s[20:21], s[0:1], 0xc4
	s_delay_alu instid0(VALU_DEP_2) | instskip(NEXT) | instid1(VALU_DEP_2)
	v_mad_co_u64_u32 v[14:15], null, s3, v8, v[2:3]
	v_mad_co_u64_u32 v[15:16], null, s1, v22, v[7:8]
	s_delay_alu instid0(VALU_DEP_2) | instskip(SKIP_2) | instid1(VALU_DEP_3)
	v_mov_b32_e32 v7, v14
	s_wait_dscnt 0x3
	v_lshrrev_b32_e32 v2, 16, v17
	v_mov_b32_e32 v14, v15
	s_wait_dscnt 0x2
	v_lshrrev_b32_e32 v8, 16, v4
	v_lshrrev_b32_e32 v20, 16, v5
	s_wait_dscnt 0x1
	v_lshrrev_b32_e32 v22, 16, v9
	v_lshrrev_b32_e32 v25, 16, v10
	;; [unrolled: 3-line block ×3, first 2 shown]
	s_wait_loadcnt 0x6
	v_lshrrev_b32_e32 v15, 16, v0
	s_wait_loadcnt 0x5
	v_lshrrev_b32_e32 v16, 16, v1
	;; [unrolled: 2-line block ×5, first 2 shown]
	v_mul_f16_e32 v31, v2, v15
	v_mul_f16_e32 v15, v17, v15
	;; [unrolled: 1-line block ×5, first 2 shown]
	v_fmac_f16_e32 v31, v17, v0
	v_fma_f16 v0, v0, v2, -v15
	v_fmac_f16_e32 v32, v4, v1
	v_fma_f16 v8, v1, v8, -v16
	v_mul_f16_e32 v34, v5, v18
	v_cvt_f32_f16_e32 v2, v31
	v_cvt_f32_f16_e32 v15, v0
	;; [unrolled: 1-line block ×3, first 2 shown]
	v_fmac_f16_e32 v33, v5, v19
	v_cvt_f32_f16_e32 v5, v8
	v_cvt_f64_f32_e32 v[0:1], v2
	v_cvt_f64_f32_e32 v[15:16], v15
	v_cvt_f64_f32_e32 v[17:18], v17
	v_mul_f16_e32 v35, v22, v28
	v_fma_f16 v8, v19, v20, -v34
	v_cvt_f32_f16_e32 v31, v33
	v_cvt_f64_f32_e32 v[19:20], v5
	s_wait_loadcnt 0x1
	v_lshrrev_b32_e32 v30, 16, v26
	v_mul_f16_e32 v4, v9, v28
	v_fmac_f16_e32 v35, v9, v23
	v_cvt_f32_f16_e32 v32, v8
	v_cvt_f64_f32_e32 v[8:9], v31
	s_wait_loadcnt 0x0
	v_lshrrev_b32_e32 v42, 16, v40
	v_mul_f16_e32 v2, v25, v29
	v_mul_f16_e32 v28, v10, v29
	;; [unrolled: 1-line block ×4, first 2 shown]
	v_fma_f16 v4, v23, v22, -v4
	v_cvt_f32_f16_e32 v31, v35
	v_cvt_f64_f32_e32 v[22:23], v32
	v_mul_f16_e32 v30, v41, v42
	v_fmac_f16_e32 v2, v10, v24
	v_fma_f16 v28, v24, v25, -v28
	v_cvt_f32_f16_e32 v4, v4
	v_fmac_f16_e32 v29, v11, v26
	v_fma_f16 v5, v26, v27, -v5
	v_cvt_f64_f32_e32 v[24:25], v31
	v_fmac_f16_e32 v30, v12, v40
	v_cvt_f32_f16_e32 v2, v2
	v_cvt_f64_f32_e32 v[10:11], v4
	v_cvt_f32_f16_e32 v4, v28
	v_cvt_f32_f16_e32 v31, v29
	;; [unrolled: 1-line block ×4, first 2 shown]
	v_cvt_f64_f32_e32 v[26:27], v2
	v_cvt_f64_f32_e32 v[28:29], v4
	;; [unrolled: 1-line block ×4, first 2 shown]
	v_mul_f64_e32 v[36:37], s[22:23], v[0:1]
	v_lshlrev_b64_e32 v[0:1], 2, v[13:14]
	v_mul_f64_e32 v[13:14], s[22:23], v[15:16]
	v_lshlrev_b64_e32 v[5:6], 2, v[6:7]
	v_mul_f64_e32 v[15:16], s[22:23], v[17:18]
	s_clause 0x1
	global_load_b32 v2, v21, s[8:9] offset:1372
	global_load_b32 v4, v21, s[8:9] offset:1568
	v_cvt_f64_f32_e32 v[34:35], v34
	v_add_co_u32 v7, vcc_lo, s4, v5
	v_add_co_ci_u32_e32 v18, vcc_lo, s5, v6, vcc_lo
	v_mul_f64_e32 v[5:6], s[22:23], v[19:20]
	s_delay_alu instid0(VALU_DEP_3)
	v_add_co_u32 v17, vcc_lo, v7, v0
	v_mul_f64_e32 v[7:8], s[22:23], v[8:9]
	s_wait_alu 0xfffd
	v_add_co_ci_u32_e32 v18, vcc_lo, v18, v1, vcc_lo
	v_mul_f64_e32 v[21:22], s[22:23], v[22:23]
	v_add_co_u32 v19, vcc_lo, v17, s20
	s_wait_alu 0xfffd
	s_delay_alu instid0(VALU_DEP_3) | instskip(SKIP_1) | instid1(VALU_DEP_3)
	v_add_co_ci_u32_e32 v20, vcc_lo, s21, v18, vcc_lo
	v_mul_f16_e32 v0, v12, v42
	v_add_co_u32 v38, vcc_lo, v19, s20
	v_mul_f64_e32 v[23:24], s[22:23], v[24:25]
	s_wait_alu 0xfffd
	v_add_co_ci_u32_e32 v39, vcc_lo, s21, v20, vcc_lo
	v_mul_f64_e32 v[9:10], s[22:23], v[10:11]
	v_add_co_u32 v11, vcc_lo, v38, s20
	s_wait_alu 0xfffd
	s_delay_alu instid0(VALU_DEP_3)
	v_add_co_ci_u32_e32 v12, vcc_lo, s21, v39, vcc_lo
	v_mul_f64_e32 v[25:26], s[22:23], v[26:27]
	v_mul_f64_e32 v[27:28], s[22:23], v[28:29]
	;; [unrolled: 1-line block ×4, first 2 shown]
	v_and_or_b32 v33, 0x1ff, v37, v36
	v_and_or_b32 v13, 0x1ff, v14, v13
	v_fma_f16 v40, v40, v41, -v0
	v_and_or_b32 v15, 0x1ff, v16, v15
	v_lshrrev_b32_e32 v36, 16, v37
	v_cmp_ne_u32_e32 vcc_lo, 0, v33
	v_mul_f64_e32 v[0:1], s[22:23], v[34:35]
	v_lshrrev_b32_e32 v34, 8, v37
	v_bfe_u32 v35, v37, 20, 11
	v_lshrrev_b32_e32 v37, 8, v14
	s_wait_alu 0xfffd
	v_cndmask_b32_e64 v33, 0, 1, vcc_lo
	v_cmp_ne_u32_e32 vcc_lo, 0, v13
	v_and_or_b32 v5, 0x1ff, v6, v5
	v_sub_nc_u32_e32 v62, 0x3f1, v35
	v_bfe_u32 v41, v14, 20, 11
	v_and_or_b32 v7, 0x1ff, v8, v7
	s_wait_alu 0xfffd
	v_cndmask_b32_e64 v13, 0, 1, vcc_lo
	v_cmp_ne_u32_e32 vcc_lo, 0, v15
	v_and_or_b32 v21, 0x1ff, v22, v21
	v_and_or_b32 v33, 0xffe, v34, v33
	v_med3_i32 v34, v62, 0, 13
	v_lshrrev_b32_e32 v42, 8, v16
	s_wait_alu 0xfffd
	v_cndmask_b32_e64 v15, 0, 1, vcc_lo
	v_cmp_ne_u32_e32 vcc_lo, 0, v5
	v_bfe_u32 v43, v16, 20, 11
	v_and_or_b32 v13, 0xffe, v37, v13
	v_and_or_b32 v23, 0x1ff, v24, v23
	v_lshrrev_b32_e32 v44, 8, v6
	s_wait_alu 0xfffd
	v_cndmask_b32_e64 v5, 0, 1, vcc_lo
	v_cmp_ne_u32_e32 vcc_lo, 0, v7
	v_and_or_b32 v9, 0x1ff, v10, v9
	v_lshrrev_b32_e32 v52, 8, v10
	v_bfe_u32 v53, v10, 20, 11
	v_bfe_u32 v45, v6, 20, 11
	s_wait_alu 0xfffd
	v_cndmask_b32_e64 v7, 0, 1, vcc_lo
	v_cmp_ne_u32_e32 vcc_lo, 0, v21
	v_and_or_b32 v25, 0x1ff, v26, v25
	v_and_or_b32 v27, 0x1ff, v28, v27
	;; [unrolled: 1-line block ×4, first 2 shown]
	s_wait_alu 0xfffd
	v_cndmask_b32_e64 v21, 0, 1, vcc_lo
	v_cmp_ne_u32_e32 vcc_lo, 0, v23
	v_lshrrev_b32_e32 v56, 8, v28
	v_bfe_u32 v57, v28, 20, 11
	v_lshrrev_b32_e32 v54, 8, v26
	v_bfe_u32 v55, v26, 20, 11
	s_wait_alu 0xfffd
	v_cndmask_b32_e64 v23, 0, 1, vcc_lo
	v_cmp_ne_u32_e32 vcc_lo, 0, v9
	v_lshrrev_b32_e32 v60, 8, v32
	v_sub_nc_u32_e32 v71, 0x3f1, v57
	v_add_nc_u32_e32 v57, 0xfffffc10, v57
	v_sub_nc_u32_e32 v70, 0x3f1, v55
	s_wait_alu 0xfffd
	v_cndmask_b32_e64 v9, 0, 1, vcc_lo
	v_cmp_ne_u32_e32 vcc_lo, 0, v25
	v_sub_nc_u32_e32 v69, 0x3f1, v53
	v_lshrrev_b32_e32 v46, 8, v8
	v_bfe_u32 v47, v8, 20, 11
	v_and_or_b32 v9, 0xffe, v52, v9
	s_wait_alu 0xfffd
	v_cndmask_b32_e64 v25, 0, 1, vcc_lo
	v_cmp_ne_u32_e32 vcc_lo, 0, v27
	v_sub_nc_u32_e32 v63, 0x3f1, v41
	v_add_nc_u32_e32 v41, 0xfffffc10, v41
	v_sub_nc_u32_e32 v64, 0x3f1, v43
	v_and_or_b32 v25, 0xffe, v54, v25
	s_wait_alu 0xfffd
	v_cndmask_b32_e64 v27, 0, 1, vcc_lo
	v_cmp_ne_u32_e32 vcc_lo, 0, v29
	v_and_or_b32 v15, 0xffe, v42, v15
	v_bfe_u32 v49, v22, 20, 11
	v_bfe_u32 v51, v24, 20, 11
	v_and_or_b32 v27, 0xffe, v56, v27
	s_wait_alu 0xfffd
	v_cndmask_b32_e64 v29, 0, 1, vcc_lo
	v_cmp_ne_u32_e32 vcc_lo, 0, v31
	v_add_nc_u32_e32 v43, 0xfffffc10, v43
	v_sub_nc_u32_e32 v65, 0x3f1, v45
	v_lshl_or_b32 v81, v57, 12, v27
	v_add_nc_u32_e32 v55, 0xfffffc10, v55
	s_wait_alu 0xfffd
	v_cndmask_b32_e64 v31, 0, 1, vcc_lo
	v_cmp_ne_u32_e32 vcc_lo, 0, v33
	v_sub_nc_u32_e32 v66, 0x3f1, v47
	v_add_nc_u32_e32 v47, 0xfffffc10, v47
	v_lshl_or_b32 v79, v55, 12, v25
	v_and_or_b32 v31, 0xffe, v60, v31
	v_or_b32_e32 v60, 0x1000, v33
	v_add_nc_u32_e32 v53, 0xfffffc10, v53
	v_med3_i32 v37, v63, 0, 13
	v_med3_i32 v42, v64, 0, 13
	v_and_or_b32 v5, 0xffe, v44, v5
	v_lshrrev_b32_e32 v83, v34, v60
	v_lshl_or_b32 v77, v53, 12, v9
	v_and_or_b32 v7, 0xffe, v46, v7
	v_or_b32_e32 v63, 0x1000, v13
	v_lshl_or_b32 v64, v41, 12, v13
	v_lshlrev_b32_e32 v34, v34, v83
	v_lshrrev_b32_e32 v48, 8, v22
	v_lshrrev_b32_e32 v50, 8, v24
	v_sub_nc_u32_e32 v67, 0x3f1, v49
	v_sub_nc_u32_e32 v68, 0x3f1, v51
	v_cmp_ne_u32_e64 s1, v34, v60
	v_med3_i32 v44, v65, 0, 13
	v_med3_i32 v46, v66, 0, 13
	;; [unrolled: 1-line block ×3, first 2 shown]
	v_or_b32_e32 v65, 0x1000, v15
	s_wait_alu 0xf1ff
	v_cndmask_b32_e64 v34, 0, 1, s1
	v_lshl_or_b32 v66, v43, 12, v15
	v_lshl_or_b32 v70, v47, 12, v7
	v_add_nc_u32_e32 v45, 0xfffffc10, v45
	v_bfe_u32 v59, v30, 20, 11
	v_or_b32_e32 v34, v83, v34
	v_add_nc_u32_e32 v35, 0xfffffc10, v35
	v_and_or_b32 v21, 0xffe, v48, v21
	v_med3_i32 v48, v67, 0, 13
	v_and_or_b32 v23, 0xffe, v50, v23
	v_med3_i32 v50, v68, 0, 13
	v_lshl_or_b32 v62, v35, 12, v33
	s_wait_alu 0xfffd
	v_cndmask_b32_e64 v33, 0, 1, vcc_lo
	v_cmp_ne_u32_e32 vcc_lo, 0, v13
	v_or_b32_e32 v67, 0x1000, v5
	v_lshl_or_b32 v68, v45, 12, v5
	v_lshrrev_b32_e32 v58, 8, v30
	v_add_nc_u32_e32 v49, 0xfffffc10, v49
	s_wait_alu 0xfffd
	v_cndmask_b32_e64 v13, 0, 1, vcc_lo
	v_cmp_ne_u32_e32 vcc_lo, 0, v15
	v_sub_nc_u32_e32 v72, 0x3f1, v59
	v_med3_i32 v52, v69, 0, 13
	v_or_b32_e32 v69, 0x1000, v7
	v_add_nc_u32_e32 v51, 0xfffffc10, v51
	s_wait_alu 0xfffd
	v_cndmask_b32_e64 v15, 0, 1, vcc_lo
	v_cmp_ne_u32_e32 vcc_lo, 0, v5
	v_med3_i32 v56, v71, 0, 13
	v_and_or_b32 v29, 0xffe, v58, v29
	v_med3_i32 v58, v72, 0, 13
	v_or_b32_e32 v71, 0x1000, v21
	s_wait_alu 0xfffd
	v_cndmask_b32_e64 v5, 0, 1, vcc_lo
	v_cmp_ne_u32_e32 vcc_lo, 0, v7
	v_lshl_or_b32 v72, v49, 12, v21
	v_or_b32_e32 v74, 0x1000, v23
	v_lshl_or_b32 v75, v51, 12, v23
	v_or_b32_e32 v76, 0x1000, v9
	s_wait_alu 0xfffd
	v_cndmask_b32_e64 v7, 0, 1, vcc_lo
	v_cmp_ne_u32_e32 vcc_lo, 0, v21
	v_or_b32_e32 v78, 0x1000, v25
	v_lshrrev_b32_e32 v84, v37, v63
	v_or_b32_e32 v80, 0x1000, v27
	v_lshrrev_b32_e32 v85, v42, v65
	s_wait_alu 0xfffd
	v_cndmask_b32_e64 v21, 0, 1, vcc_lo
	v_cmp_ne_u32_e32 vcc_lo, 0, v23
	v_lshlrev_b32_e32 v37, v37, v84
	v_lshrrev_b32_e32 v87, v46, v69
	v_lshrrev_b32_e32 v88, v48, v71
	v_lshl_or_b32 v33, v33, 9, 0x7c00
	s_wait_alu 0xfffd
	v_cndmask_b32_e64 v23, 0, 1, vcc_lo
	v_cmp_ne_u32_e32 vcc_lo, 0, v9
	v_lshlrev_b32_e32 v46, v46, v87
	v_lshrrev_b32_e32 v89, v50, v74
	v_lshlrev_b32_e32 v48, v48, v88
	v_lshrrev_b32_e32 v86, v44, v67
	s_wait_alu 0xfffd
	v_cndmask_b32_e64 v9, 0, 1, vcc_lo
	v_cmp_ne_u32_e32 vcc_lo, 0, v25
	v_lshlrev_b32_e32 v50, v50, v89
	v_lshl_or_b32 v15, v15, 9, 0x7c00
	v_lshlrev_b32_e32 v44, v44, v86
	v_or_b32_e32 v82, 0x1000, v29
	s_wait_alu 0xfffd
	v_cndmask_b32_e64 v25, 0, 1, vcc_lo
	v_cmp_ne_u32_e32 vcc_lo, 0, v27
	v_lshl_or_b32 v5, v5, 9, 0x7c00
	v_cmp_ne_u32_e64 s0, v44, v67
	v_lshrrev_b32_e32 v44, v56, v80
	v_lshl_or_b32 v13, v13, 9, 0x7c00
	s_wait_alu 0xfffd
	v_cndmask_b32_e64 v27, 0, 1, vcc_lo
	v_cmp_ne_u32_e32 vcc_lo, v37, v63
	v_lshrrev_b32_e32 v37, v52, v76
	v_lshrrev_b32_e32 v63, v54, v78
	;; [unrolled: 1-line block ×3, first 2 shown]
	v_lshl_or_b32 v27, v27, 9, 0x7c00
	v_lshlrev_b32_e32 v42, v42, v85
	s_wait_alu 0xfffd
	v_cndmask_b32_e64 v60, 0, 1, vcc_lo
	v_lshlrev_b32_e32 v52, v52, v37
	v_lshlrev_b32_e32 v54, v54, v63
	;; [unrolled: 1-line block ×3, first 2 shown]
	v_cmp_ne_u32_e32 vcc_lo, v42, v65
	v_lshl_or_b32 v21, v21, 9, 0x7c00
	v_lshlrev_b32_e32 v58, v58, v67
	v_or_b32_e32 v60, v84, v60
	s_wait_alu 0xf1ff
	v_cndmask_b32_e64 v65, 0, 1, s0
	s_wait_alu 0xfffd
	v_cndmask_b32_e64 v42, 0, 1, vcc_lo
	v_cmp_ne_u32_e32 vcc_lo, v46, v69
	v_lshl_or_b32 v7, v7, 9, 0x7c00
	v_lshl_or_b32 v23, v23, 9, 0x7c00
	v_or_b32_e32 v65, v86, v65
	v_or_b32_e32 v42, v85, v42
	s_wait_alu 0xfffd
	v_cndmask_b32_e64 v46, 0, 1, vcc_lo
	v_cmp_ne_u32_e32 vcc_lo, v48, v71
	v_lshl_or_b32 v9, v9, 9, 0x7c00
	v_lshl_or_b32 v25, v25, 9, 0x7c00
	v_lshrrev_b32_e32 v14, 16, v14
	v_or_b32_e32 v46, v87, v46
	s_wait_alu 0xfffd
	v_cndmask_b32_e64 v48, 0, 1, vcc_lo
	v_cmp_ne_u32_e32 vcc_lo, v50, v74
	v_lshrrev_b32_e32 v16, 16, v16
	v_lshrrev_b32_e32 v6, 16, v6
	;; [unrolled: 1-line block ×3, first 2 shown]
	v_or_b32_e32 v48, v88, v48
	s_wait_alu 0xfffd
	v_cndmask_b32_e64 v50, 0, 1, vcc_lo
	v_cmp_ne_u32_e32 vcc_lo, v52, v76
	v_lshrrev_b32_e32 v10, 16, v10
	v_lshrrev_b32_e32 v22, 16, v22
	;; [unrolled: 1-line block ×3, first 2 shown]
	v_or_b32_e32 v50, v89, v50
	s_wait_alu 0xfffd
	v_cndmask_b32_e64 v52, 0, 1, vcc_lo
	v_cmp_ne_u32_e32 vcc_lo, v54, v78
	v_bfe_u32 v61, v32, 20, 11
	v_lshrrev_b32_e32 v26, 16, v26
	v_add_nc_u32_e32 v59, 0xfffffc10, v59
	v_or_b32_e32 v37, v37, v52
	s_wait_alu 0xfffd
	v_cndmask_b32_e64 v54, 0, 1, vcc_lo
	v_cmp_ne_u32_e32 vcc_lo, v56, v80
	v_sub_nc_u32_e32 v73, 0x3f1, v61
	v_lshrrev_b32_e32 v28, 16, v28
	v_and_or_b32 v0, 0x1ff, v1, v0
	v_or_b32_e32 v52, v63, v54
	s_wait_alu 0xfffd
	v_cndmask_b32_e64 v56, 0, 1, vcc_lo
	v_cmp_ne_u32_e32 vcc_lo, v58, v82
	s_delay_alu instid0(VALU_DEP_2)
	v_or_b32_e32 v44, v44, v56
	s_wait_alu 0xfffd
	v_cndmask_b32_e64 v58, 0, 1, vcc_lo
	v_cmp_gt_i32_e32 vcc_lo, 1, v35
	s_wait_alu 0xfffd
	v_cndmask_b32_e32 v34, v62, v34, vcc_lo
	v_cmp_gt_i32_e32 vcc_lo, 1, v41
	s_wait_alu 0xfffd
	v_cndmask_b32_e32 v54, v64, v60, vcc_lo
	v_cmp_gt_i32_e32 vcc_lo, 1, v43
	v_and_b32_e32 v60, 7, v34
	v_lshrrev_b32_e32 v34, 2, v34
	s_delay_alu instid0(VALU_DEP_4)
	v_and_b32_e32 v62, 7, v54
	s_wait_alu 0xfffd
	v_cndmask_b32_e32 v42, v66, v42, vcc_lo
	v_cmp_gt_i32_e32 vcc_lo, 1, v45
	v_cmp_eq_u32_e64 s0, 3, v60
	v_lshrrev_b32_e32 v54, 2, v54
	v_cmp_lt_i32_e64 s1, 5, v62
	s_wait_alu 0xfffd
	v_dual_cndmask_b32 v56, v68, v65 :: v_dual_and_b32 v63, 7, v42
	v_cmp_gt_i32_e32 vcc_lo, 1, v47
	v_cmp_eq_u32_e64 s2, 3, v62
	v_lshrrev_b32_e32 v42, 2, v42
	s_delay_alu instid0(VALU_DEP_4)
	v_cmp_lt_i32_e64 s3, 5, v63
	v_and_b32_e32 v64, 7, v56
	s_wait_alu 0xfffd
	v_cndmask_b32_e32 v46, v70, v46, vcc_lo
	v_cmp_gt_i32_e32 vcc_lo, 1, v49
	v_cmp_eq_u32_e64 s4, 3, v63
	v_lshrrev_b32_e32 v56, 2, v56
	v_cmp_lt_i32_e64 s5, 5, v64
	s_wait_alu 0xfffd
	v_dual_cndmask_b32 v48, v72, v48 :: v_dual_and_b32 v65, 7, v46
	v_cmp_gt_i32_e32 vcc_lo, 1, v51
	v_cmp_eq_u32_e64 s6, 3, v64
	v_lshrrev_b32_e32 v46, 2, v46
	s_delay_alu instid0(VALU_DEP_4)
	v_cmp_lt_i32_e64 s7, 5, v65
	v_and_b32_e32 v66, 7, v48
	s_wait_alu 0xfffd
	v_cndmask_b32_e32 v50, v75, v50, vcc_lo
	v_cmp_gt_i32_e32 vcc_lo, 1, v53
	v_cmp_eq_u32_e64 s8, 3, v65
	v_lshrrev_b32_e32 v48, 2, v48
	v_cmp_lt_i32_e64 s9, 5, v66
	s_wait_alu 0xfffd
	v_dual_cndmask_b32 v37, v77, v37 :: v_dual_and_b32 v68, 7, v50
	v_cmp_gt_i32_e32 vcc_lo, 1, v55
	v_cmp_eq_u32_e64 s10, 3, v66
	v_lshrrev_b32_e32 v50, 2, v50
	s_delay_alu instid0(VALU_DEP_4) | instskip(SKIP_4) | instid1(VALU_DEP_2)
	v_cmp_lt_i32_e64 s11, 5, v68
	v_cmp_eq_u32_e64 s12, 3, v68
	s_wait_alu 0xfffd
	v_cndmask_b32_e32 v52, v79, v52, vcc_lo
	v_cmp_gt_i32_e32 vcc_lo, 1, v57
	v_and_b32_e32 v70, 7, v52
	s_wait_alu 0xfffd
	v_cndmask_b32_e32 v44, v81, v44, vcc_lo
	v_cmp_lt_i32_e32 vcc_lo, 5, v60
	v_lshrrev_b32_e32 v52, 2, v52
	v_cmp_lt_i32_e64 s15, 5, v70
	v_cmp_eq_u32_e64 s16, 3, v70
	s_or_b32 vcc_lo, s0, vcc_lo
	s_wait_alu 0xfffe
	v_add_co_ci_u32_e32 v34, vcc_lo, 0, v34, vcc_lo
	s_or_b32 vcc_lo, s2, s1
	v_cmp_eq_u32_e64 s1, 0x40f, v59
	s_wait_alu 0xfffe
	v_add_co_ci_u32_e32 v54, vcc_lo, 0, v54, vcc_lo
	s_or_b32 vcc_lo, s4, s3
	v_and_b32_e32 v69, 7, v37
	s_wait_alu 0xfffe
	v_add_co_ci_u32_e32 v42, vcc_lo, 0, v42, vcc_lo
	s_or_b32 vcc_lo, s6, s5
	v_and_b32_e32 v71, 7, v44
	s_wait_alu 0xfffe
	v_add_co_ci_u32_e32 v56, vcc_lo, 0, v56, vcc_lo
	s_or_b32 vcc_lo, s8, s7
	v_cmp_lt_i32_e64 s13, 5, v69
	s_wait_alu 0xfffe
	v_add_co_ci_u32_e32 v46, vcc_lo, 0, v46, vcc_lo
	s_or_b32 vcc_lo, s10, s9
	v_cmp_eq_u32_e64 s14, 3, v69
	s_wait_alu 0xfffe
	v_add_co_ci_u32_e32 v48, vcc_lo, 0, v48, vcc_lo
	v_lshrrev_b32_e32 v37, 2, v37
	s_or_b32 vcc_lo, s12, s11
	v_cmp_lt_i32_e64 s17, 5, v71
	s_wait_alu 0xfffe
	v_add_co_ci_u32_e32 v50, vcc_lo, 0, v50, vcc_lo
	s_or_b32 vcc_lo, s14, s13
	v_cmp_eq_u32_e64 s18, 3, v71
	s_wait_alu 0xfffe
	v_add_co_ci_u32_e32 v37, vcc_lo, 0, v37, vcc_lo
	v_lshrrev_b32_e32 v44, 2, v44
	s_or_b32 vcc_lo, s16, s15
	s_wait_alu 0xfffe
	v_add_co_ci_u32_e32 v52, vcc_lo, 0, v52, vcc_lo
	s_or_b32 vcc_lo, s18, s17
	s_wait_alu 0xfffe
	v_add_co_ci_u32_e32 v44, vcc_lo, 0, v44, vcc_lo
	v_cmp_gt_i32_e32 vcc_lo, 31, v35
	s_wait_alu 0xfffd
	v_cndmask_b32_e32 v34, 0x7c00, v34, vcc_lo
	v_cmp_gt_i32_e32 vcc_lo, 31, v41
	s_wait_alu 0xfffd
	v_cndmask_b32_e32 v54, 0x7c00, v54, vcc_lo
	;; [unrolled: 3-line block ×10, first 2 shown]
	v_cmp_eq_u32_e32 vcc_lo, 0x40f, v35
	s_wait_alu 0xfffd
	v_cndmask_b32_e32 v33, v34, v33, vcc_lo
	v_cmp_eq_u32_e32 vcc_lo, 0x40f, v41
	s_delay_alu instid0(VALU_DEP_2) | instskip(SKIP_3) | instid1(VALU_DEP_2)
	v_and_or_b32 v33, 0x8000, v36, v33
	s_wait_alu 0xfffd
	v_cndmask_b32_e32 v13, v54, v13, vcc_lo
	v_cmp_eq_u32_e32 vcc_lo, 0x40f, v43
	v_and_or_b32 v13, 0x8000, v14, v13
	s_wait_alu 0xfffd
	v_cndmask_b32_e32 v15, v42, v15, vcc_lo
	v_cmp_eq_u32_e32 vcc_lo, 0x40f, v45
	s_delay_alu instid0(VALU_DEP_2)
	v_and_or_b32 v14, 0x8000, v16, v15
	s_wait_alu 0xfffd
	v_cndmask_b32_e32 v5, v56, v5, vcc_lo
	v_cmp_eq_u32_e32 vcc_lo, 0x40f, v47
	v_and_b32_e32 v15, 0xffff, v33
	v_med3_i32 v16, v73, 0, 13
	v_and_b32_e32 v14, 0xffff, v14
	v_and_or_b32 v5, 0x8000, v6, v5
	s_wait_alu 0xfffd
	v_cndmask_b32_e32 v7, v46, v7, vcc_lo
	v_cmp_eq_u32_e32 vcc_lo, 0x40f, v49
	s_delay_alu instid0(VALU_DEP_3) | instskip(NEXT) | instid1(VALU_DEP_3)
	v_lshl_or_b32 v5, v5, 16, v14
	v_and_or_b32 v6, 0x8000, v8, v7
	s_wait_alu 0xfffd
	v_cndmask_b32_e32 v21, v48, v21, vcc_lo
	v_cmp_eq_u32_e32 vcc_lo, 0x40f, v51
	s_delay_alu instid0(VALU_DEP_3) | instskip(NEXT) | instid1(VALU_DEP_3)
	v_and_b32_e32 v6, 0xffff, v6
	v_and_or_b32 v7, 0x8000, v22, v21
	s_wait_alu 0xfffd
	v_cndmask_b32_e32 v23, v50, v23, vcc_lo
	v_cmp_eq_u32_e32 vcc_lo, 0x40f, v53
	s_delay_alu instid0(VALU_DEP_3) | instskip(NEXT) | instid1(VALU_DEP_3)
	v_lshl_or_b32 v14, v7, 16, v6
	v_and_or_b32 v8, 0x8000, v24, v23
	s_wait_alu 0xfffd
	v_cndmask_b32_e32 v9, v37, v9, vcc_lo
	v_cmp_eq_u32_e32 vcc_lo, 0x40f, v55
	v_cvt_f32_f16_e32 v7, v40
	v_lshrrev_b32_e32 v23, 16, v30
	v_and_b32_e32 v8, 0xffff, v8
	v_and_or_b32 v9, 0x8000, v10, v9
	v_lshl_or_b32 v10, v13, 16, v15
	s_clause 0x1
	global_store_b32 v[17:18], v10, off
	global_store_b32 v[19:20], v5, off
	ds_load_2addr_b32 v[5:6], v3 offset0:87 offset1:136
	s_wait_alu 0xfffd
	v_cndmask_b32_e32 v25, v52, v25, vcc_lo
	v_cmp_eq_u32_e32 vcc_lo, 0x40f, v57
	v_lshl_or_b32 v9, v9, 16, v8
	v_or_b32_e32 v15, 0x1000, v31
	v_cvt_f64_f32_e32 v[7:8], v7
	v_and_or_b32 v13, 0x8000, v26, v25
	s_wait_alu 0xfffd
	v_cndmask_b32_e32 v27, v44, v27, vcc_lo
	v_or_b32_e32 v3, v67, v58
	v_lshl_or_b32 v10, v59, 12, v29
	v_cmp_gt_i32_e32 vcc_lo, 1, v59
	v_lshrrev_b32_e32 v18, v16, v15
	v_and_or_b32 v17, 0x8000, v28, v27
	v_and_b32_e32 v13, 0xffff, v13
	s_clause 0x1
	global_store_b32 v[38:39], v14, off
	global_store_b32 v[11:12], v9, off
	s_wait_alu 0xfffd
	v_dual_cndmask_b32 v3, v10, v3 :: v_dual_lshlrev_b32 v14, v16, v18
	s_wait_loadcnt 0x1
	v_lshrrev_b32_e32 v19, 16, v2
	v_lshl_or_b32 v17, v17, 16, v13
	v_add_co_u32 v9, vcc_lo, v11, s20
	v_and_b32_e32 v13, 7, v3
	s_wait_dscnt 0x0
	v_lshrrev_b32_e32 v16, 16, v5
	v_cmp_ne_u32_e64 s0, v14, v15
	s_wait_alu 0xfffd
	v_add_co_ci_u32_e32 v10, vcc_lo, s21, v12, vcc_lo
	v_cmp_lt_i32_e32 vcc_lo, 5, v13
	v_mul_f16_e32 v12, v16, v19
	s_wait_alu 0xf1ff
	v_cndmask_b32_e64 v11, 0, 1, s0
	v_cmp_eq_u32_e64 s0, 3, v13
	v_lshrrev_b32_e32 v3, 2, v3
	v_add_nc_u32_e32 v14, 0xfffffc10, v61
	v_fmac_f16_e32 v12, v5, v2
	v_or_b32_e32 v11, v18, v11
	s_or_b32 vcc_lo, s0, vcc_lo
	v_lshrrev_b32_e32 v15, 8, v1
	s_wait_alu 0xfffe
	v_add_co_ci_u32_e32 v3, vcc_lo, 0, v3, vcc_lo
	v_lshl_or_b32 v13, v14, 12, v31
	v_cmp_gt_i32_e32 vcc_lo, 1, v14
	v_cvt_f32_f16_e32 v12, v12
	v_bfe_u32 v18, v1, 20, 11
	v_mul_f16_e32 v5, v5, v19
	v_mul_f64_e32 v[7:8], s[22:23], v[7:8]
	s_wait_alu 0xfffd
	v_cndmask_b32_e32 v13, v13, v11, vcc_lo
	v_cmp_ne_u32_e32 vcc_lo, 0, v0
	v_cvt_f64_f32_e32 v[11:12], v12
	v_fma_f16 v2, v2, v16, -v5
	s_delay_alu instid0(VALU_DEP_4)
	v_and_b32_e32 v21, 7, v13
	s_wait_alu 0xfffd
	v_cndmask_b32_e64 v0, 0, 1, vcc_lo
	v_cmp_ne_u32_e32 vcc_lo, 0, v29
	v_lshrrev_b32_e32 v13, 2, v13
	v_cvt_f32_f16_e32 v2, v2
	v_cmp_eq_u32_e64 s0, 3, v21
	v_and_or_b32 v0, 0xffe, v15, v0
	s_wait_alu 0xfffd
	v_cndmask_b32_e64 v20, 0, 1, vcc_lo
	v_cmp_gt_i32_e32 vcc_lo, 31, v59
	v_sub_nc_u32_e32 v15, 0x3f1, v18
	v_add_nc_u32_e32 v18, 0xfffffc10, v18
	v_or_b32_e32 v22, 0x1000, v0
	v_lshl_or_b32 v20, v20, 9, 0x7c00
	s_wait_alu 0xfffd
	v_cndmask_b32_e32 v3, 0x7c00, v3, vcc_lo
	v_cmp_lt_i32_e32 vcc_lo, 5, v21
	v_med3_i32 v15, v15, 0, 13
	s_delay_alu instid0(VALU_DEP_3) | instskip(SKIP_1) | instid1(VALU_DEP_2)
	v_cndmask_b32_e64 v3, v3, v20, s1
	s_or_b32 vcc_lo, s0, vcc_lo
	v_lshrrev_b32_e32 v20, v15, v22
	s_wait_alu 0xfffe
	v_add_co_ci_u32_e32 v13, vcc_lo, 0, v13, vcc_lo
	v_cmp_ne_u32_e32 vcc_lo, 0, v31
	s_delay_alu instid0(VALU_DEP_3) | instskip(SKIP_4) | instid1(VALU_DEP_3)
	v_lshlrev_b32_e32 v15, v15, v20
	s_wait_alu 0xfffd
	v_cndmask_b32_e64 v21, 0, 1, vcc_lo
	v_cmp_gt_i32_e32 vcc_lo, 31, v14
	v_and_or_b32 v7, 0x1ff, v8, v7
	v_lshl_or_b32 v21, v21, 9, 0x7c00
	s_wait_alu 0xfffd
	v_cndmask_b32_e32 v13, 0x7c00, v13, vcc_lo
	v_cmp_ne_u32_e32 vcc_lo, v15, v22
	v_mul_f64_e32 v[11:12], s[22:23], v[11:12]
	v_and_or_b32 v22, 0x8000, v23, v3
	v_bfe_u32 v16, v8, 20, 11
	s_wait_alu 0xfffd
	v_cndmask_b32_e64 v15, 0, 1, vcc_lo
	v_cmp_eq_u32_e32 vcc_lo, 0x40f, v14
	v_lshl_or_b32 v14, v18, 12, v0
	s_wait_alu 0xfffd
	v_cndmask_b32_e32 v3, v13, v21, vcc_lo
	v_or_b32_e32 v13, v20, v15
	v_cmp_gt_i32_e32 vcc_lo, 1, v18
	v_lshrrev_b32_e32 v15, 16, v32
	v_lshrrev_b32_e32 v20, 16, v6
	s_wait_loadcnt 0x0
	v_lshrrev_b32_e32 v21, 16, v4
	s_wait_alu 0xfffd
	v_cndmask_b32_e32 v5, v14, v13, vcc_lo
	v_cmp_ne_u32_e32 vcc_lo, 0, v7
	v_lshrrev_b32_e32 v13, 8, v8
	v_and_or_b32 v14, 0x8000, v15, v3
	v_cvt_f64_f32_e32 v[2:3], v2
	v_and_b32_e32 v15, 7, v5
	s_wait_alu 0xfffd
	v_cndmask_b32_e64 v7, 0, 1, vcc_lo
	v_lshrrev_b32_e32 v5, 2, v5
	v_mul_f16_e32 v23, v20, v21
	v_lshrrev_b32_e32 v8, 16, v8
	v_cmp_lt_i32_e32 vcc_lo, 5, v15
	v_and_or_b32 v19, 0xffe, v13, v7
	v_sub_nc_u32_e32 v7, 0x3f1, v16
	v_cmp_eq_u32_e64 s0, 3, v15
	v_and_b32_e32 v13, 0xffff, v22
	v_fmac_f16_e32 v23, v6, v4
	v_or_b32_e32 v22, 0x1000, v19
	v_med3_i32 v7, v7, 0, 13
	s_or_b32 vcc_lo, s0, vcc_lo
	v_lshl_or_b32 v15, v14, 16, v13
	s_wait_alu 0xfffe
	v_add_co_ci_u32_e32 v5, vcc_lo, 0, v5, vcc_lo
	v_lshrrev_b32_e32 v24, v7, v22
	v_cmp_ne_u32_e32 vcc_lo, 0, v0
	v_cvt_f32_f16_e32 v13, v23
	v_mul_f16_e32 v6, v6, v21
	v_bfe_u32 v21, v12, 20, 11
	v_lshlrev_b32_e32 v7, v7, v24
	s_wait_alu 0xfffd
	v_cndmask_b32_e64 v0, 0, 1, vcc_lo
	v_cmp_gt_i32_e32 vcc_lo, 31, v18
	v_cvt_f64_f32_e32 v[13:14], v13
	v_fma_f16 v4, v4, v20, -v6
	s_delay_alu instid0(VALU_DEP_4)
	v_lshl_or_b32 v0, v0, 9, 0x7c00
	s_wait_alu 0xfffd
	v_cndmask_b32_e32 v23, 0x7c00, v5, vcc_lo
	v_and_or_b32 v5, 0x1ff, v12, v11
	v_cmp_ne_u32_e32 vcc_lo, v7, v22
	v_add_nc_u32_e32 v11, 0xfffffc10, v16
	v_lshrrev_b32_e32 v16, 8, v12
	v_cvt_f32_f16_e32 v4, v4
	v_lshrrev_b32_e32 v22, 16, v1
	s_wait_alu 0xfffd
	v_cndmask_b32_e64 v7, 0, 1, vcc_lo
	v_cmp_ne_u32_e32 vcc_lo, 0, v5
	v_lshl_or_b32 v6, v11, 12, v19
	v_mul_f64_e32 v[2:3], s[22:23], v[2:3]
	v_lshrrev_b32_e32 v12, 16, v12
	v_or_b32_e32 v7, v24, v7
	s_wait_alu 0xfffd
	v_cndmask_b32_e64 v5, 0, 1, vcc_lo
	v_cmp_gt_i32_e32 vcc_lo, 1, v11
	s_delay_alu instid0(VALU_DEP_2)
	v_and_or_b32 v16, 0xffe, v16, v5
	v_sub_nc_u32_e32 v5, 0x3f1, v21
	s_wait_alu 0xfffd
	v_cndmask_b32_e32 v6, v6, v7, vcc_lo
	v_cmp_eq_u32_e32 vcc_lo, 0x40f, v18
	v_add_nc_u32_e32 v21, 0xfffffc10, v21
	v_or_b32_e32 v7, 0x1000, v16
	v_med3_i32 v20, v5, 0, 13
	v_cvt_f64_f32_e32 v[4:5], v4
	s_delay_alu instid0(VALU_DEP_2) | instskip(NEXT) | instid1(VALU_DEP_1)
	v_lshrrev_b32_e32 v24, v20, v7
	v_lshlrev_b32_e32 v20, v20, v24
	s_wait_alu 0xfffd
	v_dual_cndmask_b32 v18, v23, v0 :: v_dual_and_b32 v23, 7, v6
	v_add_co_u32 v0, vcc_lo, v9, s20
	s_wait_alu 0xfffd
	v_add_co_ci_u32_e32 v1, vcc_lo, s21, v10, vcc_lo
	s_delay_alu instid0(VALU_DEP_3)
	v_cmp_lt_i32_e32 vcc_lo, 5, v23
	v_cmp_eq_u32_e64 s0, 3, v23
	v_and_or_b32 v18, 0x8000, v22, v18
	v_lshrrev_b32_e32 v22, 2, v6
	v_cmp_ne_u32_e64 s1, v20, v7
	v_mul_f64_e32 v[6:7], s[22:23], v[13:14]
	s_or_b32 vcc_lo, s0, vcc_lo
	v_and_or_b32 v2, 0x1ff, v3, v2
	s_wait_alu 0xfffe
	v_add_co_ci_u32_e32 v13, vcc_lo, 0, v22, vcc_lo
	v_cmp_ne_u32_e32 vcc_lo, 0, v19
	v_cndmask_b32_e64 v20, 0, 1, s1
	s_wait_alu 0xfffd
	v_cndmask_b32_e64 v14, 0, 1, vcc_lo
	v_cmp_gt_i32_e32 vcc_lo, 31, v11
	s_delay_alu instid0(VALU_DEP_3) | instskip(SKIP_1) | instid1(VALU_DEP_4)
	v_or_b32_e32 v19, v24, v20
	v_lshl_or_b32 v20, v21, 12, v16
	v_lshl_or_b32 v14, v14, 9, 0x7c00
	s_wait_alu 0xfffd
	v_cndmask_b32_e32 v13, 0x7c00, v13, vcc_lo
	v_cmp_gt_i32_e32 vcc_lo, 1, v21
	v_mul_f64_e32 v[4:5], s[22:23], v[4:5]
	s_wait_alu 0xfffd
	v_cndmask_b32_e32 v19, v20, v19, vcc_lo
	v_cmp_eq_u32_e32 vcc_lo, 0x40f, v11
	v_bfe_u32 v20, v3, 20, 11
	s_wait_alu 0xfffd
	v_cndmask_b32_e32 v11, v13, v14, vcc_lo
	v_cmp_ne_u32_e32 vcc_lo, 0, v2
	v_and_b32_e32 v13, 7, v19
	v_lshrrev_b32_e32 v14, 8, v3
	v_lshrrev_b32_e32 v3, 16, v3
	v_and_or_b32 v8, 0x8000, v8, v11
	v_and_b32_e32 v11, 0xffff, v18
	s_wait_alu 0xfffd
	v_cndmask_b32_e64 v2, 0, 1, vcc_lo
	v_cmp_lt_i32_e32 vcc_lo, 5, v13
	v_cmp_eq_u32_e64 s0, 3, v13
	v_and_or_b32 v6, 0x1ff, v7, v6
	v_lshl_or_b32 v8, v8, 16, v11
	v_lshrrev_b32_e32 v11, 2, v19
	v_and_or_b32 v2, 0xffe, v14, v2
	v_sub_nc_u32_e32 v14, 0x3f1, v20
	s_or_b32 vcc_lo, s0, vcc_lo
	v_lshrrev_b32_e32 v19, 8, v7
	s_wait_alu 0xfffe
	v_add_co_ci_u32_e32 v11, vcc_lo, 0, v11, vcc_lo
	v_or_b32_e32 v13, 0x1000, v2
	v_med3_i32 v14, v14, 0, 13
	v_cmp_ne_u32_e32 vcc_lo, 0, v16
	v_bfe_u32 v22, v7, 20, 11
	v_lshrrev_b32_e32 v7, 16, v7
	s_delay_alu instid0(VALU_DEP_4)
	v_lshrrev_b32_e32 v18, v14, v13
	s_wait_alu 0xfffd
	v_cndmask_b32_e64 v16, 0, 1, vcc_lo
	v_cmp_gt_i32_e32 vcc_lo, 31, v21
	v_and_or_b32 v4, 0x1ff, v5, v4
	v_lshlrev_b32_e32 v14, v14, v18
	s_delay_alu instid0(VALU_DEP_4)
	v_lshl_or_b32 v16, v16, 9, 0x7c00
	s_wait_alu 0xfffd
	v_cndmask_b32_e32 v11, 0x7c00, v11, vcc_lo
	v_cmp_ne_u32_e32 vcc_lo, 0, v6
	s_wait_alu 0xfffd
	v_cndmask_b32_e64 v6, 0, 1, vcc_lo
	v_cmp_ne_u32_e32 vcc_lo, v14, v13
	v_add_nc_u32_e32 v14, 0xfffffc10, v20
	v_lshrrev_b32_e32 v20, 8, v5
	s_delay_alu instid0(VALU_DEP_4)
	v_and_or_b32 v6, 0xffe, v19, v6
	s_wait_alu 0xfffd
	v_cndmask_b32_e64 v13, 0, 1, vcc_lo
	v_sub_nc_u32_e32 v19, 0x3f1, v22
	v_cmp_eq_u32_e32 vcc_lo, 0x40f, v21
	v_bfe_u32 v21, v5, 20, 11
	v_lshrrev_b32_e32 v5, 16, v5
	v_or_b32_e32 v13, v18, v13
	v_or_b32_e32 v18, 0x1000, v6
	s_wait_alu 0xfffd
	v_cndmask_b32_e32 v11, v11, v16, vcc_lo
	v_lshl_or_b32 v16, v14, 12, v2
	v_med3_i32 v19, v19, 0, 13
	v_cmp_gt_i32_e32 vcc_lo, 1, v14
	s_delay_alu instid0(VALU_DEP_4)
	v_and_or_b32 v11, 0x8000, v12, v11
	v_sub_nc_u32_e32 v12, 0x3f1, v21
	s_wait_alu 0xfffd
	v_cndmask_b32_e32 v13, v16, v13, vcc_lo
	v_lshrrev_b32_e32 v16, v19, v18
	v_cmp_ne_u32_e32 vcc_lo, 0, v4
	v_med3_i32 v12, v12, 0, 13
	v_and_b32_e32 v11, 0xffff, v11
	v_and_b32_e32 v23, 7, v13
	v_lshlrev_b32_e32 v19, v19, v16
	s_wait_alu 0xfffd
	v_cndmask_b32_e64 v4, 0, 1, vcc_lo
	v_lshrrev_b32_e32 v13, 2, v13
	v_cmp_lt_i32_e32 vcc_lo, 5, v23
	v_cmp_ne_u32_e64 s0, v19, v18
	s_delay_alu instid0(VALU_DEP_4) | instskip(SKIP_2) | instid1(VALU_DEP_3)
	v_and_or_b32 v4, 0xffe, v20, v4
	v_add_nc_u32_e32 v20, 0xfffffc10, v22
	s_wait_alu 0xf1ff
	v_cndmask_b32_e64 v18, 0, 1, s0
	v_cmp_eq_u32_e64 s0, 3, v23
	v_or_b32_e32 v19, 0x1000, v4
	v_lshl_or_b32 v22, v20, 12, v6
	s_delay_alu instid0(VALU_DEP_4) | instskip(NEXT) | instid1(VALU_DEP_4)
	v_or_b32_e32 v16, v16, v18
	s_or_b32 vcc_lo, s0, vcc_lo
	s_delay_alu instid0(VALU_DEP_3) | instskip(SKIP_3) | instid1(VALU_DEP_3)
	v_lshrrev_b32_e32 v18, v12, v19
	s_wait_alu 0xfffe
	v_add_co_ci_u32_e32 v13, vcc_lo, 0, v13, vcc_lo
	v_cmp_gt_i32_e32 vcc_lo, 1, v20
	v_lshlrev_b32_e32 v12, v12, v18
	s_wait_alu 0xfffd
	v_cndmask_b32_e32 v16, v22, v16, vcc_lo
	v_cmp_ne_u32_e32 vcc_lo, 0, v2
	s_wait_alu 0xfffd
	v_cndmask_b32_e64 v2, 0, 1, vcc_lo
	v_cmp_ne_u32_e32 vcc_lo, v12, v19
	v_add_nc_u32_e32 v19, 0xfffffc10, v21
	v_and_b32_e32 v21, 7, v16
	s_delay_alu instid0(VALU_DEP_4)
	v_lshl_or_b32 v2, v2, 9, 0x7c00
	s_wait_alu 0xfffd
	v_cndmask_b32_e64 v12, 0, 1, vcc_lo
	v_cmp_gt_i32_e32 vcc_lo, 31, v14
	v_cmp_gt_i32_e64 s1, 1, v19
	v_cmp_eq_u32_e64 s0, 3, v21
	s_delay_alu instid0(VALU_DEP_4) | instskip(SKIP_2) | instid1(VALU_DEP_1)
	v_or_b32_e32 v12, v18, v12
	v_lshl_or_b32 v18, v19, 12, v4
	s_wait_alu 0xf1ff
	v_cndmask_b32_e64 v12, v18, v12, s1
	s_wait_alu 0xfffd
	v_cndmask_b32_e32 v13, 0x7c00, v13, vcc_lo
	v_cmp_eq_u32_e64 s1, 0x40f, v14
	v_cmp_lt_i32_e32 vcc_lo, 5, v21
	v_and_b32_e32 v14, 7, v12
	v_lshrrev_b32_e32 v12, 2, v12
	s_wait_alu 0xf1ff
	v_cndmask_b32_e64 v2, v13, v2, s1
	v_lshrrev_b32_e32 v13, 2, v16
	s_or_b32 vcc_lo, s0, vcc_lo
	v_cmp_eq_u32_e64 s0, 3, v14
	v_cmp_gt_i32_e64 s1, 31, v20
	s_wait_alu 0xfffe
	v_add_co_ci_u32_e32 v13, vcc_lo, 0, v13, vcc_lo
	v_cmp_ne_u32_e32 vcc_lo, 0, v6
	s_wait_alu 0xf1ff
	s_delay_alu instid0(VALU_DEP_2) | instskip(SKIP_3) | instid1(VALU_DEP_2)
	v_cndmask_b32_e64 v13, 0x7c00, v13, s1
	s_wait_alu 0xfffd
	v_cndmask_b32_e64 v6, 0, 1, vcc_lo
	v_cmp_lt_i32_e32 vcc_lo, 5, v14
	v_lshl_or_b32 v6, v6, 9, 0x7c00
	s_or_b32 vcc_lo, s0, vcc_lo
	s_wait_alu 0xfffe
	v_add_co_ci_u32_e32 v12, vcc_lo, 0, v12, vcc_lo
	v_cmp_ne_u32_e32 vcc_lo, 0, v4
	s_wait_alu 0xfffd
	v_cndmask_b32_e64 v4, 0, 1, vcc_lo
	v_cmp_eq_u32_e32 vcc_lo, 0x40f, v20
	s_delay_alu instid0(VALU_DEP_2) | instskip(SKIP_4) | instid1(VALU_DEP_3)
	v_lshl_or_b32 v4, v4, 9, 0x7c00
	s_wait_alu 0xfffd
	v_cndmask_b32_e32 v6, v13, v6, vcc_lo
	v_cmp_gt_i32_e32 vcc_lo, 31, v19
	v_and_or_b32 v13, 0x8000, v3, v2
	v_and_or_b32 v6, 0x8000, v7, v6
	s_wait_alu 0xfffd
	v_cndmask_b32_e32 v12, 0x7c00, v12, vcc_lo
	v_cmp_eq_u32_e32 vcc_lo, 0x40f, v19
	v_lshl_or_b32 v11, v13, 16, v11
	v_and_b32_e32 v6, 0xffff, v6
	s_wait_alu 0xfffd
	v_cndmask_b32_e32 v4, v12, v4, vcc_lo
	v_add_co_u32 v2, vcc_lo, v0, s20
	s_wait_alu 0xfffd
	v_add_co_ci_u32_e32 v3, vcc_lo, s21, v1, vcc_lo
	s_delay_alu instid0(VALU_DEP_3) | instskip(NEXT) | instid1(VALU_DEP_3)
	v_and_or_b32 v7, 0x8000, v5, v4
	v_add_co_u32 v4, vcc_lo, v2, s20
	s_wait_alu 0xfffd
	s_delay_alu instid0(VALU_DEP_3) | instskip(NEXT) | instid1(VALU_DEP_3)
	v_add_co_ci_u32_e32 v5, vcc_lo, s21, v3, vcc_lo
	v_lshl_or_b32 v12, v7, 16, v6
	s_delay_alu instid0(VALU_DEP_3) | instskip(SKIP_1) | instid1(VALU_DEP_3)
	v_add_co_u32 v6, vcc_lo, v4, s20
	s_wait_alu 0xfffd
	v_add_co_ci_u32_e32 v7, vcc_lo, s21, v5, vcc_lo
	global_store_b32 v[9:10], v17, off
	global_store_b32 v[0:1], v15, off
	;; [unrolled: 1-line block ×5, first 2 shown]
.LBB0_15:
	s_nop 0
	s_sendmsg sendmsg(MSG_DEALLOC_VGPRS)
	s_endpgm
	.section	.rodata,"a",@progbits
	.p2align	6, 0x0
	.amdhsa_kernel bluestein_single_fwd_len441_dim1_half_op_CI_CI
		.amdhsa_group_segment_fixed_size 1764
		.amdhsa_private_segment_fixed_size 0
		.amdhsa_kernarg_size 104
		.amdhsa_user_sgpr_count 2
		.amdhsa_user_sgpr_dispatch_ptr 0
		.amdhsa_user_sgpr_queue_ptr 0
		.amdhsa_user_sgpr_kernarg_segment_ptr 1
		.amdhsa_user_sgpr_dispatch_id 0
		.amdhsa_user_sgpr_private_segment_size 0
		.amdhsa_wavefront_size32 1
		.amdhsa_uses_dynamic_stack 0
		.amdhsa_enable_private_segment 0
		.amdhsa_system_sgpr_workgroup_id_x 1
		.amdhsa_system_sgpr_workgroup_id_y 0
		.amdhsa_system_sgpr_workgroup_id_z 0
		.amdhsa_system_sgpr_workgroup_info 0
		.amdhsa_system_vgpr_workitem_id 0
		.amdhsa_next_free_vgpr 90
		.amdhsa_next_free_sgpr 24
		.amdhsa_reserve_vcc 1
		.amdhsa_float_round_mode_32 0
		.amdhsa_float_round_mode_16_64 0
		.amdhsa_float_denorm_mode_32 3
		.amdhsa_float_denorm_mode_16_64 3
		.amdhsa_fp16_overflow 0
		.amdhsa_workgroup_processor_mode 1
		.amdhsa_memory_ordered 1
		.amdhsa_forward_progress 0
		.amdhsa_round_robin_scheduling 0
		.amdhsa_exception_fp_ieee_invalid_op 0
		.amdhsa_exception_fp_denorm_src 0
		.amdhsa_exception_fp_ieee_div_zero 0
		.amdhsa_exception_fp_ieee_overflow 0
		.amdhsa_exception_fp_ieee_underflow 0
		.amdhsa_exception_fp_ieee_inexact 0
		.amdhsa_exception_int_div_zero 0
	.end_amdhsa_kernel
	.text
.Lfunc_end0:
	.size	bluestein_single_fwd_len441_dim1_half_op_CI_CI, .Lfunc_end0-bluestein_single_fwd_len441_dim1_half_op_CI_CI
                                        ; -- End function
	.section	.AMDGPU.csdata,"",@progbits
; Kernel info:
; codeLenInByte = 12932
; NumSgprs: 26
; NumVgprs: 90
; ScratchSize: 0
; MemoryBound: 0
; FloatMode: 240
; IeeeMode: 1
; LDSByteSize: 1764 bytes/workgroup (compile time only)
; SGPRBlocks: 3
; VGPRBlocks: 11
; NumSGPRsForWavesPerEU: 26
; NumVGPRsForWavesPerEU: 90
; Occupancy: 16
; WaveLimiterHint : 1
; COMPUTE_PGM_RSRC2:SCRATCH_EN: 0
; COMPUTE_PGM_RSRC2:USER_SGPR: 2
; COMPUTE_PGM_RSRC2:TRAP_HANDLER: 0
; COMPUTE_PGM_RSRC2:TGID_X_EN: 1
; COMPUTE_PGM_RSRC2:TGID_Y_EN: 0
; COMPUTE_PGM_RSRC2:TGID_Z_EN: 0
; COMPUTE_PGM_RSRC2:TIDIG_COMP_CNT: 0
	.text
	.p2alignl 7, 3214868480
	.fill 96, 4, 3214868480
	.type	__hip_cuid_745d7b546804fc93,@object ; @__hip_cuid_745d7b546804fc93
	.section	.bss,"aw",@nobits
	.globl	__hip_cuid_745d7b546804fc93
__hip_cuid_745d7b546804fc93:
	.byte	0                               ; 0x0
	.size	__hip_cuid_745d7b546804fc93, 1

	.ident	"AMD clang version 19.0.0git (https://github.com/RadeonOpenCompute/llvm-project roc-6.4.0 25133 c7fe45cf4b819c5991fe208aaa96edf142730f1d)"
	.section	".note.GNU-stack","",@progbits
	.addrsig
	.addrsig_sym __hip_cuid_745d7b546804fc93
	.amdgpu_metadata
---
amdhsa.kernels:
  - .args:
      - .actual_access:  read_only
        .address_space:  global
        .offset:         0
        .size:           8
        .value_kind:     global_buffer
      - .actual_access:  read_only
        .address_space:  global
        .offset:         8
        .size:           8
        .value_kind:     global_buffer
      - .actual_access:  read_only
        .address_space:  global
        .offset:         16
        .size:           8
        .value_kind:     global_buffer
      - .actual_access:  read_only
        .address_space:  global
        .offset:         24
        .size:           8
        .value_kind:     global_buffer
      - .actual_access:  read_only
        .address_space:  global
        .offset:         32
        .size:           8
        .value_kind:     global_buffer
      - .offset:         40
        .size:           8
        .value_kind:     by_value
      - .address_space:  global
        .offset:         48
        .size:           8
        .value_kind:     global_buffer
      - .address_space:  global
        .offset:         56
        .size:           8
        .value_kind:     global_buffer
      - .address_space:  global
        .offset:         64
        .size:           8
        .value_kind:     global_buffer
      - .address_space:  global
        .offset:         72
        .size:           8
        .value_kind:     global_buffer
      - .offset:         80
        .size:           4
        .value_kind:     by_value
      - .address_space:  global
        .offset:         88
        .size:           8
        .value_kind:     global_buffer
      - .address_space:  global
        .offset:         96
        .size:           8
        .value_kind:     global_buffer
    .group_segment_fixed_size: 1764
    .kernarg_segment_align: 8
    .kernarg_segment_size: 104
    .language:       OpenCL C
    .language_version:
      - 2
      - 0
    .max_flat_workgroup_size: 63
    .name:           bluestein_single_fwd_len441_dim1_half_op_CI_CI
    .private_segment_fixed_size: 0
    .sgpr_count:     26
    .sgpr_spill_count: 0
    .symbol:         bluestein_single_fwd_len441_dim1_half_op_CI_CI.kd
    .uniform_work_group_size: 1
    .uses_dynamic_stack: false
    .vgpr_count:     90
    .vgpr_spill_count: 0
    .wavefront_size: 32
    .workgroup_processor_mode: 1
amdhsa.target:   amdgcn-amd-amdhsa--gfx1201
amdhsa.version:
  - 1
  - 2
...

	.end_amdgpu_metadata
